;; amdgpu-corpus repo=ROCm/rocFFT kind=compiled arch=gfx906 opt=O3
	.text
	.amdgcn_target "amdgcn-amd-amdhsa--gfx906"
	.amdhsa_code_object_version 6
	.protected	fft_rtc_fwd_len2880_factors_10_6_6_2_2_2_wgs_96_tpt_96_halfLds_sp_op_CI_CI_sbrr_dirReg ; -- Begin function fft_rtc_fwd_len2880_factors_10_6_6_2_2_2_wgs_96_tpt_96_halfLds_sp_op_CI_CI_sbrr_dirReg
	.globl	fft_rtc_fwd_len2880_factors_10_6_6_2_2_2_wgs_96_tpt_96_halfLds_sp_op_CI_CI_sbrr_dirReg
	.p2align	8
	.type	fft_rtc_fwd_len2880_factors_10_6_6_2_2_2_wgs_96_tpt_96_halfLds_sp_op_CI_CI_sbrr_dirReg,@function
fft_rtc_fwd_len2880_factors_10_6_6_2_2_2_wgs_96_tpt_96_halfLds_sp_op_CI_CI_sbrr_dirReg: ; @fft_rtc_fwd_len2880_factors_10_6_6_2_2_2_wgs_96_tpt_96_halfLds_sp_op_CI_CI_sbrr_dirReg
; %bb.0:
	s_load_dwordx4 s[16:19], s[4:5], 0x18
	s_load_dwordx4 s[12:15], s[4:5], 0x0
	;; [unrolled: 1-line block ×3, first 2 shown]
	v_mul_u32_u24_e32 v1, 0x2ab, v0
	v_add_u32_sdwa v3, s6, v1 dst_sel:DWORD dst_unused:UNUSED_PAD src0_sel:DWORD src1_sel:WORD_1
	s_waitcnt lgkmcnt(0)
	s_load_dwordx2 s[20:21], s[16:17], 0x0
	s_load_dwordx2 s[2:3], s[18:19], 0x0
	v_cmp_lt_u64_e64 s[0:1], s[14:15], 2
	v_mov_b32_e32 v1, 0
	v_mov_b32_e32 v34, 0
	;; [unrolled: 1-line block ×3, first 2 shown]
	s_and_b64 vcc, exec, s[0:1]
	v_mov_b32_e32 v35, 0
	s_cbranch_vccnz .LBB0_8
; %bb.1:
	s_load_dwordx2 s[0:1], s[4:5], 0x10
	s_add_u32 s6, s18, 8
	s_addc_u32 s7, s19, 0
	s_add_u32 s22, s16, 8
	v_mov_b32_e32 v34, 0
	s_addc_u32 s23, s17, 0
	v_mov_b32_e32 v35, 0
	s_waitcnt lgkmcnt(0)
	s_add_u32 s24, s0, 8
	v_mov_b32_e32 v39, v35
	s_addc_u32 s25, s1, 0
	s_mov_b64 s[26:27], 1
	v_mov_b32_e32 v38, v34
.LBB0_2:                                ; =>This Inner Loop Header: Depth=1
	s_load_dwordx2 s[28:29], s[24:25], 0x0
                                        ; implicit-def: $vgpr41_vgpr42
	s_waitcnt lgkmcnt(0)
	v_or_b32_e32 v2, s29, v4
	v_cmp_ne_u64_e32 vcc, 0, v[1:2]
	s_and_saveexec_b64 s[0:1], vcc
	s_xor_b64 s[30:31], exec, s[0:1]
	s_cbranch_execz .LBB0_4
; %bb.3:                                ;   in Loop: Header=BB0_2 Depth=1
	v_cvt_f32_u32_e32 v2, s28
	v_cvt_f32_u32_e32 v5, s29
	s_sub_u32 s0, 0, s28
	s_subb_u32 s1, 0, s29
	v_mac_f32_e32 v2, 0x4f800000, v5
	v_rcp_f32_e32 v2, v2
	v_mul_f32_e32 v2, 0x5f7ffffc, v2
	v_mul_f32_e32 v5, 0x2f800000, v2
	v_trunc_f32_e32 v5, v5
	v_mac_f32_e32 v2, 0xcf800000, v5
	v_cvt_u32_f32_e32 v5, v5
	v_cvt_u32_f32_e32 v2, v2
	v_mul_lo_u32 v6, s0, v5
	v_mul_hi_u32 v7, s0, v2
	v_mul_lo_u32 v9, s1, v2
	v_mul_lo_u32 v8, s0, v2
	v_add_u32_e32 v6, v7, v6
	v_add_u32_e32 v6, v6, v9
	v_mul_hi_u32 v7, v2, v8
	v_mul_lo_u32 v9, v2, v6
	v_mul_hi_u32 v11, v2, v6
	v_mul_hi_u32 v10, v5, v8
	v_mul_lo_u32 v8, v5, v8
	v_mul_hi_u32 v12, v5, v6
	v_add_co_u32_e32 v7, vcc, v7, v9
	v_addc_co_u32_e32 v9, vcc, 0, v11, vcc
	v_mul_lo_u32 v6, v5, v6
	v_add_co_u32_e32 v7, vcc, v7, v8
	v_addc_co_u32_e32 v7, vcc, v9, v10, vcc
	v_addc_co_u32_e32 v8, vcc, 0, v12, vcc
	v_add_co_u32_e32 v6, vcc, v7, v6
	v_addc_co_u32_e32 v7, vcc, 0, v8, vcc
	v_add_co_u32_e32 v2, vcc, v2, v6
	v_addc_co_u32_e32 v5, vcc, v5, v7, vcc
	v_mul_lo_u32 v6, s0, v5
	v_mul_hi_u32 v7, s0, v2
	v_mul_lo_u32 v8, s1, v2
	v_mul_lo_u32 v9, s0, v2
	v_add_u32_e32 v6, v7, v6
	v_add_u32_e32 v6, v6, v8
	v_mul_lo_u32 v10, v2, v6
	v_mul_hi_u32 v11, v2, v9
	v_mul_hi_u32 v12, v2, v6
	;; [unrolled: 1-line block ×3, first 2 shown]
	v_mul_lo_u32 v9, v5, v9
	v_mul_hi_u32 v7, v5, v6
	v_add_co_u32_e32 v10, vcc, v11, v10
	v_addc_co_u32_e32 v11, vcc, 0, v12, vcc
	v_mul_lo_u32 v6, v5, v6
	v_add_co_u32_e32 v9, vcc, v10, v9
	v_addc_co_u32_e32 v8, vcc, v11, v8, vcc
	v_addc_co_u32_e32 v7, vcc, 0, v7, vcc
	v_add_co_u32_e32 v6, vcc, v8, v6
	v_addc_co_u32_e32 v7, vcc, 0, v7, vcc
	v_add_co_u32_e32 v2, vcc, v2, v6
	v_addc_co_u32_e32 v7, vcc, v5, v7, vcc
	v_mad_u64_u32 v[5:6], s[0:1], v3, v7, 0
	v_mul_hi_u32 v8, v3, v2
	v_add_co_u32_e32 v9, vcc, v8, v5
	v_addc_co_u32_e32 v10, vcc, 0, v6, vcc
	v_mad_u64_u32 v[5:6], s[0:1], v4, v2, 0
	v_mad_u64_u32 v[7:8], s[0:1], v4, v7, 0
	v_add_co_u32_e32 v2, vcc, v9, v5
	v_addc_co_u32_e32 v2, vcc, v10, v6, vcc
	v_addc_co_u32_e32 v5, vcc, 0, v8, vcc
	v_add_co_u32_e32 v2, vcc, v2, v7
	v_addc_co_u32_e32 v7, vcc, 0, v5, vcc
	v_mul_lo_u32 v8, s29, v2
	v_mul_lo_u32 v9, s28, v7
	v_mad_u64_u32 v[5:6], s[0:1], s28, v2, 0
	v_add3_u32 v6, v6, v9, v8
	v_sub_u32_e32 v8, v4, v6
	v_mov_b32_e32 v9, s29
	v_sub_co_u32_e32 v5, vcc, v3, v5
	v_subb_co_u32_e64 v8, s[0:1], v8, v9, vcc
	v_subrev_co_u32_e64 v9, s[0:1], s28, v5
	v_subbrev_co_u32_e64 v8, s[0:1], 0, v8, s[0:1]
	v_cmp_le_u32_e64 s[0:1], s29, v8
	v_cndmask_b32_e64 v10, 0, -1, s[0:1]
	v_cmp_le_u32_e64 s[0:1], s28, v9
	v_cndmask_b32_e64 v9, 0, -1, s[0:1]
	v_cmp_eq_u32_e64 s[0:1], s29, v8
	v_cndmask_b32_e64 v8, v10, v9, s[0:1]
	v_add_co_u32_e64 v9, s[0:1], 2, v2
	v_addc_co_u32_e64 v10, s[0:1], 0, v7, s[0:1]
	v_add_co_u32_e64 v11, s[0:1], 1, v2
	v_addc_co_u32_e64 v12, s[0:1], 0, v7, s[0:1]
	v_subb_co_u32_e32 v6, vcc, v4, v6, vcc
	v_cmp_ne_u32_e64 s[0:1], 0, v8
	v_cmp_le_u32_e32 vcc, s29, v6
	v_cndmask_b32_e64 v8, v12, v10, s[0:1]
	v_cndmask_b32_e64 v10, 0, -1, vcc
	v_cmp_le_u32_e32 vcc, s28, v5
	v_cndmask_b32_e64 v5, 0, -1, vcc
	v_cmp_eq_u32_e32 vcc, s29, v6
	v_cndmask_b32_e32 v5, v10, v5, vcc
	v_cmp_ne_u32_e32 vcc, 0, v5
	v_cndmask_b32_e64 v5, v11, v9, s[0:1]
	v_cndmask_b32_e32 v42, v7, v8, vcc
	v_cndmask_b32_e32 v41, v2, v5, vcc
.LBB0_4:                                ;   in Loop: Header=BB0_2 Depth=1
	s_andn2_saveexec_b64 s[0:1], s[30:31]
	s_cbranch_execz .LBB0_6
; %bb.5:                                ;   in Loop: Header=BB0_2 Depth=1
	v_cvt_f32_u32_e32 v2, s28
	s_sub_i32 s30, 0, s28
	v_mov_b32_e32 v42, v1
	v_rcp_iflag_f32_e32 v2, v2
	v_mul_f32_e32 v2, 0x4f7ffffe, v2
	v_cvt_u32_f32_e32 v2, v2
	v_mul_lo_u32 v5, s30, v2
	v_mul_hi_u32 v5, v2, v5
	v_add_u32_e32 v2, v2, v5
	v_mul_hi_u32 v2, v3, v2
	v_mul_lo_u32 v5, v2, s28
	v_add_u32_e32 v6, 1, v2
	v_sub_u32_e32 v5, v3, v5
	v_subrev_u32_e32 v7, s28, v5
	v_cmp_le_u32_e32 vcc, s28, v5
	v_cndmask_b32_e32 v5, v5, v7, vcc
	v_cndmask_b32_e32 v2, v2, v6, vcc
	v_add_u32_e32 v6, 1, v2
	v_cmp_le_u32_e32 vcc, s28, v5
	v_cndmask_b32_e32 v41, v2, v6, vcc
.LBB0_6:                                ;   in Loop: Header=BB0_2 Depth=1
	s_or_b64 exec, exec, s[0:1]
	v_mul_lo_u32 v2, v42, s28
	v_mul_lo_u32 v7, v41, s29
	v_mad_u64_u32 v[5:6], s[0:1], v41, s28, 0
	s_load_dwordx2 s[0:1], s[22:23], 0x0
	s_load_dwordx2 s[28:29], s[6:7], 0x0
	v_add3_u32 v2, v6, v7, v2
	v_sub_co_u32_e32 v3, vcc, v3, v5
	v_subb_co_u32_e32 v2, vcc, v4, v2, vcc
	s_waitcnt lgkmcnt(0)
	v_mul_lo_u32 v4, s0, v2
	v_mul_lo_u32 v5, s1, v3
	v_mad_u64_u32 v[34:35], s[0:1], s0, v3, v[34:35]
	v_mul_lo_u32 v2, s28, v2
	v_mul_lo_u32 v6, s29, v3
	v_mad_u64_u32 v[38:39], s[0:1], s28, v3, v[38:39]
	s_add_u32 s26, s26, 1
	s_addc_u32 s27, s27, 0
	s_add_u32 s6, s6, 8
	v_add3_u32 v39, v6, v39, v2
	s_addc_u32 s7, s7, 0
	v_mov_b32_e32 v2, s14
	s_add_u32 s22, s22, 8
	v_mov_b32_e32 v3, s15
	s_addc_u32 s23, s23, 0
	v_cmp_ge_u64_e32 vcc, s[26:27], v[2:3]
	s_add_u32 s24, s24, 8
	v_add3_u32 v35, v5, v35, v4
	s_addc_u32 s25, s25, 0
	s_cbranch_vccnz .LBB0_9
; %bb.7:                                ;   in Loop: Header=BB0_2 Depth=1
	v_mov_b32_e32 v3, v41
	v_mov_b32_e32 v4, v42
	s_branch .LBB0_2
.LBB0_8:
	v_mov_b32_e32 v39, v35
	v_mov_b32_e32 v42, v4
	;; [unrolled: 1-line block ×4, first 2 shown]
.LBB0_9:
	s_load_dwordx2 s[0:1], s[4:5], 0x28
	s_lshl_b64 s[14:15], s[14:15], 3
	s_add_u32 s4, s18, s14
	s_addc_u32 s5, s19, s15
                                        ; implicit-def: $vgpr36
                                        ; implicit-def: $vgpr49
                                        ; implicit-def: $vgpr54
                                        ; implicit-def: $vgpr63
                                        ; implicit-def: $vgpr46
                                        ; implicit-def: $vgpr59
                                        ; implicit-def: $vgpr61
                                        ; implicit-def: $vgpr57
                                        ; implicit-def: $vgpr45
                                        ; implicit-def: $vgpr48
                                        ; implicit-def: $vgpr40
                                        ; implicit-def: $vgpr51
                                        ; implicit-def: $vgpr43
                                        ; implicit-def: $vgpr52
                                        ; implicit-def: $vgpr56
	s_waitcnt lgkmcnt(0)
	v_cmp_gt_u64_e32 vcc, s[0:1], v[41:42]
	v_cmp_le_u64_e64 s[0:1], s[0:1], v[41:42]
	s_and_saveexec_b64 s[6:7], s[0:1]
	s_xor_b64 s[0:1], exec, s[6:7]
	s_cbranch_execz .LBB0_11
; %bb.10:
	s_mov_b32 s6, 0x2aaaaab
	v_mul_hi_u32 v1, v0, s6
	v_mov_b32_e32 v37, 0
	v_mov_b32_e32 v50, v37
	;; [unrolled: 1-line block ×3, first 2 shown]
	v_mul_u32_u24_e32 v1, 0x60, v1
	v_sub_u32_e32 v36, v0, v1
	v_add_u32_e32 v49, 0x60, v36
	v_add_u32_e32 v54, 0xc0, v36
	;; [unrolled: 1-line block ×5, first 2 shown]
	v_or_b32_e32 v61, 0x180, v36
	v_add_u32_e32 v57, 0x240, v36
	v_add_u32_e32 v45, 0x2a0, v36
	v_or_b32_e32 v48, 0x300, v36
	v_add_u32_e32 v40, 0x360, v36
	v_add_u32_e32 v51, 0x420, v36
	v_or_b32_e32 v43, 0x480, v36
	v_add_u32_e32 v52, 0x4e0, v36
	v_mov_b32_e32 v60, v37
	v_mov_b32_e32 v62, v37
	;; [unrolled: 1-line block ×4, first 2 shown]
	v_add_u32_e32 v56, 0x540, v36
                                        ; implicit-def: $vgpr0
                                        ; implicit-def: $vgpr34_vgpr35
.LBB0_11:
	s_or_saveexec_b64 s[6:7], s[0:1]
                                        ; implicit-def: $vgpr71
                                        ; implicit-def: $vgpr86
                                        ; implicit-def: $vgpr88
                                        ; implicit-def: $vgpr90
                                        ; implicit-def: $vgpr92
                                        ; implicit-def: $vgpr21
                                        ; implicit-def: $vgpr33
                                        ; implicit-def: $vgpr66
                                        ; implicit-def: $vgpr76
                                        ; implicit-def: $vgpr78
                                        ; implicit-def: $vgpr1
                                        ; implicit-def: $vgpr13
                                        ; implicit-def: $vgpr15
                                        ; implicit-def: $vgpr17
                                        ; implicit-def: $vgpr19
                                        ; implicit-def: $vgpr11
                                        ; implicit-def: $vgpr9
                                        ; implicit-def: $vgpr7
                                        ; implicit-def: $vgpr5
                                        ; implicit-def: $vgpr3
                                        ; implicit-def: $vgpr31
                                        ; implicit-def: $vgpr29
                                        ; implicit-def: $vgpr27
                                        ; implicit-def: $vgpr25
                                        ; implicit-def: $vgpr23
                                        ; implicit-def: $vgpr84
                                        ; implicit-def: $vgpr82
                                        ; implicit-def: $vgpr80
                                        ; implicit-def: $vgpr73
                                        ; implicit-def: $vgpr69
	s_xor_b64 exec, exec, s[6:7]
	s_cbranch_execz .LBB0_13
; %bb.12:
	s_add_u32 s0, s16, s14
	s_mov_b32 s14, 0x2aaaaab
	s_addc_u32 s1, s17, s15
	v_mul_hi_u32 v1, v0, s14
	s_load_dwordx2 s[0:1], s[0:1], 0x0
	v_mov_b32_e32 v37, 0
	v_mov_b32_e32 v60, v37
	v_mul_u32_u24_e32 v1, 0x60, v1
	v_sub_u32_e32 v36, v0, v1
	s_waitcnt lgkmcnt(0)
	v_mul_lo_u32 v6, s1, v41
	v_mad_u64_u32 v[0:1], s[14:15], s20, v36, 0
	v_mul_lo_u32 v7, s0, v42
	v_mad_u64_u32 v[2:3], s[0:1], s0, v41, 0
	v_add_u32_e32 v59, 0x120, v36
	v_add_u32_e32 v57, 0x240, v36
	v_mad_u64_u32 v[4:5], s[0:1], s21, v36, v[1:2]
	v_add3_u32 v3, v3, v7, v6
	v_lshlrev_b64 v[2:3], 3, v[2:3]
	v_mov_b32_e32 v1, v4
	v_mov_b32_e32 v4, s9
	v_add_co_u32_e64 v5, s[0:1], s8, v2
	v_addc_co_u32_e64 v8, s[0:1], v4, v3, s[0:1]
	v_mad_u64_u32 v[6:7], s[0:1], s20, v59, 0
	v_lshlrev_b64 v[2:3], 3, v[34:35]
	v_lshlrev_b64 v[0:1], 3, v[0:1]
	v_add_co_u32_e64 v4, s[0:1], v5, v2
	v_mov_b32_e32 v2, v7
	v_addc_co_u32_e64 v5, s[0:1], v8, v3, s[0:1]
	v_mad_u64_u32 v[2:3], s[0:1], s21, v59, v[2:3]
	v_mad_u64_u32 v[8:9], s[0:1], s20, v57, 0
	v_mov_b32_e32 v7, v2
	v_add_co_u32_e64 v0, s[0:1], v4, v0
	v_lshlrev_b64 v[2:3], 3, v[6:7]
	v_mov_b32_e32 v6, v9
	v_addc_co_u32_e64 v1, s[0:1], v5, v1, s[0:1]
	v_mad_u64_u32 v[6:7], s[0:1], s21, v57, v[6:7]
	v_add_u32_e32 v40, 0x360, v36
	v_mad_u64_u32 v[10:11], s[0:1], s20, v40, 0
	v_mov_b32_e32 v9, v6
	v_add_co_u32_e64 v2, s[0:1], v4, v2
	v_lshlrev_b64 v[6:7], 3, v[8:9]
	v_mov_b32_e32 v8, v11
	v_addc_co_u32_e64 v3, s[0:1], v5, v3, s[0:1]
	v_mad_u64_u32 v[8:9], s[0:1], s21, v40, v[8:9]
	v_or_b32_e32 v43, 0x480, v36
	v_mad_u64_u32 v[12:13], s[0:1], s20, v43, 0
	v_mov_b32_e32 v11, v8
	v_add_co_u32_e64 v6, s[0:1], v4, v6
	v_lshlrev_b64 v[8:9], 3, v[10:11]
	v_mov_b32_e32 v10, v13
	v_addc_co_u32_e64 v7, s[0:1], v5, v7, s[0:1]
	v_mad_u64_u32 v[10:11], s[0:1], s21, v43, v[10:11]
	v_add_u32_e32 v16, 0x5a0, v36
	v_mad_u64_u32 v[14:15], s[0:1], s20, v16, 0
	v_mov_b32_e32 v13, v10
	v_add_co_u32_e64 v8, s[0:1], v4, v8
	v_lshlrev_b64 v[10:11], 3, v[12:13]
	v_mov_b32_e32 v12, v15
	v_addc_co_u32_e64 v9, s[0:1], v5, v9, s[0:1]
	v_mad_u64_u32 v[12:13], s[0:1], s21, v16, v[12:13]
	v_add_u32_e32 v18, 0x6c0, v36
	;; [unrolled: 8-line block ×3, first 2 shown]
	v_mad_u64_u32 v[18:19], s[0:1], s20, v20, 0
	v_mov_b32_e32 v17, v14
	v_add_co_u32_e64 v12, s[0:1], v4, v12
	v_lshlrev_b64 v[14:15], 3, v[16:17]
	v_mov_b32_e32 v16, v19
	v_addc_co_u32_e64 v13, s[0:1], v5, v13, s[0:1]
	v_mad_u64_u32 v[16:17], s[0:1], s21, v20, v[16:17]
	v_or_b32_e32 v22, 0x900, v36
	v_mad_u64_u32 v[20:21], s[0:1], s20, v22, 0
	v_mov_b32_e32 v19, v16
	v_add_co_u32_e64 v14, s[0:1], v4, v14
	v_lshlrev_b64 v[16:17], 3, v[18:19]
	v_mov_b32_e32 v18, v21
	v_addc_co_u32_e64 v15, s[0:1], v5, v15, s[0:1]
	v_mad_u64_u32 v[18:19], s[0:1], s21, v22, v[18:19]
	v_add_u32_e32 v24, 0xa20, v36
	v_mad_u64_u32 v[22:23], s[0:1], s20, v24, 0
	v_mov_b32_e32 v21, v18
	v_add_co_u32_e64 v16, s[0:1], v4, v16
	v_lshlrev_b64 v[18:19], 3, v[20:21]
	v_mov_b32_e32 v20, v23
	v_addc_co_u32_e64 v17, s[0:1], v5, v17, s[0:1]
	v_mad_u64_u32 v[20:21], s[0:1], s21, v24, v[20:21]
	v_add_u32_e32 v49, 0x60, v36
	v_mad_u64_u32 v[24:25], s[0:1], s20, v49, 0
	v_mov_b32_e32 v23, v20
	v_add_co_u32_e64 v18, s[0:1], v4, v18
	v_lshlrev_b64 v[20:21], 3, v[22:23]
	v_mov_b32_e32 v22, v25
	v_or_b32_e32 v61, 0x180, v36
	v_addc_co_u32_e64 v19, s[0:1], v5, v19, s[0:1]
	v_mad_u64_u32 v[22:23], s[0:1], s21, v49, v[22:23]
	v_mad_u64_u32 v[26:27], s[0:1], s20, v61, 0
	v_add_co_u32_e64 v28, s[0:1], v4, v20
	v_mov_b32_e32 v25, v22
	v_mov_b32_e32 v22, v27
	v_addc_co_u32_e64 v29, s[0:1], v5, v21, s[0:1]
	v_mad_u64_u32 v[22:23], s[0:1], s21, v61, v[22:23]
	v_add_u32_e32 v45, 0x2a0, v36
	v_lshlrev_b64 v[20:21], 3, v[24:25]
	v_mad_u64_u32 v[23:24], s[0:1], s20, v45, 0
	v_add_co_u32_e64 v30, s[0:1], v4, v20
	v_mov_b32_e32 v27, v22
	v_mov_b32_e32 v22, v24
	v_addc_co_u32_e64 v31, s[0:1], v5, v21, s[0:1]
	v_mad_u64_u32 v[24:25], s[0:1], s21, v45, v[22:23]
	v_add_u32_e32 v46, 0x3c0, v36
	v_lshlrev_b64 v[20:21], 3, v[26:27]
	v_mad_u64_u32 v[25:26], s[0:1], s20, v46, 0
	v_add_co_u32_e64 v34, s[0:1], v4, v20
	v_mov_b32_e32 v22, v26
	v_addc_co_u32_e64 v35, s[0:1], v5, v21, s[0:1]
	v_lshlrev_b64 v[20:21], 3, v[23:24]
	v_mad_u64_u32 v[22:23], s[0:1], s21, v46, v[22:23]
	v_add_u32_e32 v52, 0x4e0, v36
	v_mad_u64_u32 v[23:24], s[0:1], s20, v52, 0
	v_add_co_u32_e64 v74, s[0:1], v4, v20
	v_mov_b32_e32 v26, v22
	v_mov_b32_e32 v22, v24
	v_addc_co_u32_e64 v75, s[0:1], v5, v21, s[0:1]
	v_lshlrev_b64 v[20:21], 3, v[25:26]
	v_mad_u64_u32 v[24:25], s[0:1], s21, v52, v[22:23]
	v_or_b32_e32 v27, 0x600, v36
	v_mad_u64_u32 v[25:26], s[0:1], s20, v27, 0
	v_add_co_u32_e64 v76, s[0:1], v4, v20
	v_mov_b32_e32 v22, v26
	v_addc_co_u32_e64 v77, s[0:1], v5, v21, s[0:1]
	v_lshlrev_b64 v[20:21], 3, v[23:24]
	v_mad_u64_u32 v[22:23], s[0:1], s21, v27, v[22:23]
	v_add_u32_e32 v27, 0x720, v36
	v_mad_u64_u32 v[23:24], s[0:1], s20, v27, 0
	v_add_co_u32_e64 v93, s[0:1], v4, v20
	v_mov_b32_e32 v26, v22
	v_mov_b32_e32 v22, v24
	v_addc_co_u32_e64 v94, s[0:1], v5, v21, s[0:1]
	v_lshlrev_b64 v[20:21], 3, v[25:26]
	v_mad_u64_u32 v[24:25], s[0:1], s21, v27, v[22:23]
	v_add_u32_e32 v27, 0x840, v36
	v_mad_u64_u32 v[25:26], s[0:1], s20, v27, 0
	v_add_co_u32_e64 v95, s[0:1], v4, v20
	v_mov_b32_e32 v22, v26
	v_addc_co_u32_e64 v96, s[0:1], v5, v21, s[0:1]
	v_lshlrev_b64 v[20:21], 3, v[23:24]
	v_mad_u64_u32 v[22:23], s[0:1], s21, v27, v[22:23]
	v_add_u32_e32 v27, 0x960, v36
	v_mad_u64_u32 v[23:24], s[0:1], s20, v27, 0
	v_add_co_u32_e64 v97, s[0:1], v4, v20
	v_mov_b32_e32 v26, v22
	v_mov_b32_e32 v22, v24
	v_addc_co_u32_e64 v98, s[0:1], v5, v21, s[0:1]
	v_lshlrev_b64 v[20:21], 3, v[25:26]
	v_mad_u64_u32 v[24:25], s[0:1], s21, v27, v[22:23]
	v_or_b32_e32 v27, 0xa80, v36
	v_mad_u64_u32 v[25:26], s[0:1], s20, v27, 0
	v_add_co_u32_e64 v99, s[0:1], v4, v20
	v_mov_b32_e32 v22, v26
	v_addc_co_u32_e64 v100, s[0:1], v5, v21, s[0:1]
	v_lshlrev_b64 v[20:21], 3, v[23:24]
	v_mad_u64_u32 v[22:23], s[0:1], s21, v27, v[22:23]
	v_add_u32_e32 v54, 0xc0, v36
	v_mad_u64_u32 v[23:24], s[0:1], s20, v54, 0
	v_add_co_u32_e64 v101, s[0:1], v4, v20
	v_mov_b32_e32 v26, v22
	v_mov_b32_e32 v22, v24
	v_addc_co_u32_e64 v102, s[0:1], v5, v21, s[0:1]
	v_lshlrev_b64 v[20:21], 3, v[25:26]
	v_mad_u64_u32 v[24:25], s[0:1], s21, v54, v[22:23]
	v_add_u32_e32 v63, 0x1e0, v36
	v_mad_u64_u32 v[25:26], s[0:1], s20, v63, 0
	v_add_co_u32_e64 v103, s[0:1], v4, v20
	v_mov_b32_e32 v22, v26
	v_addc_co_u32_e64 v104, s[0:1], v5, v21, s[0:1]
	v_lshlrev_b64 v[20:21], 3, v[23:24]
	v_mad_u64_u32 v[22:23], s[0:1], s21, v63, v[22:23]
	v_or_b32_e32 v48, 0x300, v36
	v_mad_u64_u32 v[23:24], s[0:1], s20, v48, 0
	v_add_co_u32_e64 v105, s[0:1], v4, v20
	v_mov_b32_e32 v26, v22
	v_mov_b32_e32 v22, v24
	v_addc_co_u32_e64 v106, s[0:1], v5, v21, s[0:1]
	v_lshlrev_b64 v[20:21], 3, v[25:26]
	v_mad_u64_u32 v[24:25], s[0:1], s21, v48, v[22:23]
	v_add_u32_e32 v51, 0x420, v36
	v_mad_u64_u32 v[25:26], s[0:1], s20, v51, 0
	v_add_co_u32_e64 v107, s[0:1], v4, v20
	v_mov_b32_e32 v22, v26
	v_addc_co_u32_e64 v108, s[0:1], v5, v21, s[0:1]
	v_lshlrev_b64 v[20:21], 3, v[23:24]
	v_mad_u64_u32 v[22:23], s[0:1], s21, v51, v[22:23]
	v_add_u32_e32 v56, 0x540, v36
	v_mad_u64_u32 v[23:24], s[0:1], s20, v56, 0
	v_add_co_u32_e64 v109, s[0:1], v4, v20
	v_mov_b32_e32 v26, v22
	v_mov_b32_e32 v22, v24
	v_addc_co_u32_e64 v110, s[0:1], v5, v21, s[0:1]
	v_lshlrev_b64 v[20:21], 3, v[25:26]
	v_mad_u64_u32 v[24:25], s[0:1], s21, v56, v[22:23]
	v_add_u32_e32 v27, 0x660, v36
	v_mad_u64_u32 v[25:26], s[0:1], s20, v27, 0
	v_add_co_u32_e64 v111, s[0:1], v4, v20
	v_mov_b32_e32 v22, v26
	v_addc_co_u32_e64 v112, s[0:1], v5, v21, s[0:1]
	v_lshlrev_b64 v[20:21], 3, v[23:24]
	v_mad_u64_u32 v[22:23], s[0:1], s21, v27, v[22:23]
	v_or_b32_e32 v27, 0x780, v36
	v_mad_u64_u32 v[23:24], s[0:1], s20, v27, 0
	v_add_co_u32_e64 v113, s[0:1], v4, v20
	v_mov_b32_e32 v26, v22
	v_mov_b32_e32 v22, v24
	v_addc_co_u32_e64 v114, s[0:1], v5, v21, s[0:1]
	v_lshlrev_b64 v[20:21], 3, v[25:26]
	v_mad_u64_u32 v[24:25], s[0:1], s21, v27, v[22:23]
	v_add_u32_e32 v27, 0x8a0, v36
	v_mad_u64_u32 v[25:26], s[0:1], s20, v27, 0
	v_add_co_u32_e64 v115, s[0:1], v4, v20
	v_mov_b32_e32 v22, v26
	v_addc_co_u32_e64 v116, s[0:1], v5, v21, s[0:1]
	v_lshlrev_b64 v[20:21], 3, v[23:24]
	v_mad_u64_u32 v[22:23], s[0:1], s21, v27, v[22:23]
	v_add_u32_e32 v27, 0x9c0, v36
	v_mad_u64_u32 v[23:24], s[0:1], s20, v27, 0
	v_add_co_u32_e64 v117, s[0:1], v4, v20
	v_mov_b32_e32 v26, v22
	v_mov_b32_e32 v22, v24
	v_addc_co_u32_e64 v118, s[0:1], v5, v21, s[0:1]
	v_lshlrev_b64 v[20:21], 3, v[25:26]
	v_mad_u64_u32 v[24:25], s[0:1], s21, v27, v[22:23]
	v_add_u32_e32 v27, 0xae0, v36
	v_mad_u64_u32 v[25:26], s[0:1], s20, v27, 0
	v_add_co_u32_e64 v119, s[0:1], v4, v20
	v_mov_b32_e32 v22, v26
	v_addc_co_u32_e64 v120, s[0:1], v5, v21, s[0:1]
	v_lshlrev_b64 v[20:21], 3, v[23:24]
	v_mad_u64_u32 v[22:23], s[0:1], s21, v27, v[22:23]
	v_add_co_u32_e64 v121, s[0:1], v4, v20
	v_mov_b32_e32 v26, v22
	v_addc_co_u32_e64 v122, s[0:1], v5, v21, s[0:1]
	v_lshlrev_b64 v[20:21], 3, v[25:26]
	v_mov_b32_e32 v58, v37
	v_add_co_u32_e64 v123, s[0:1], v4, v20
	v_addc_co_u32_e64 v124, s[0:1], v5, v21, s[0:1]
	global_load_dwordx2 v[70:71], v[0:1], off
	global_load_dwordx2 v[68:69], v[2:3], off
	;; [unrolled: 1-line block ×15, first 2 shown]
                                        ; kill: killed $vgpr12 killed $vgpr13
                                        ; kill: killed $vgpr6 killed $vgpr7
                                        ; kill: killed $vgpr34 killed $vgpr35
                                        ; kill: killed $vgpr16 killed $vgpr17
                                        ; kill: killed $vgpr8 killed $vgpr9
                                        ; kill: killed $vgpr74 killed $vgpr75
                                        ; kill: killed $vgpr28 killed $vgpr29
                                        ; kill: killed $vgpr10 killed $vgpr11
                                        ; kill: killed $vgpr2 killed $vgpr3
                                        ; kill: killed $vgpr76 killed $vgpr77
                                        ; kill: killed $vgpr30 killed $vgpr31
                                        ; kill: killed $vgpr14 killed $vgpr15
                                        ; kill: killed $vgpr93 killed $vgpr94
                                        ; kill: killed $vgpr18 killed $vgpr19
                                        ; kill: killed $vgpr0 killed $vgpr1
	global_load_dwordx2 v[26:27], v[95:96], off
	s_nop 0
	global_load_dwordx2 v[75:76], v[97:98], off
	global_load_dwordx2 v[28:29], v[99:100], off
	;; [unrolled: 1-line block ×14, first 2 shown]
	v_mov_b32_e32 v50, v37
	v_mov_b32_e32 v62, v37
	v_mov_b32_e32 v55, v37
	v_mov_b32_e32 v64, v37
.LBB0_13:
	s_or_b64 exec, exec, s[6:7]
	s_waitcnt vmcnt(27)
	v_add_f32_e32 v34, v70, v85
	s_waitcnt vmcnt(25)
	v_add_f32_e32 v34, v34, v87
	s_waitcnt vmcnt(23)
	v_add_f32_e32 v34, v34, v89
	s_waitcnt vmcnt(21)
	v_add_f32_e32 v44, v34, v91
	v_add_f32_e32 v34, v87, v89
	v_fma_f32 v47, -0.5, v34, v70
	v_sub_f32_e32 v34, v86, v92
	v_mov_b32_e32 v53, v47
	v_fmac_f32_e32 v53, 0x3f737871, v34
	v_sub_f32_e32 v35, v88, v90
	v_sub_f32_e32 v67, v85, v87
	;; [unrolled: 1-line block ×3, first 2 shown]
	v_fmac_f32_e32 v47, 0xbf737871, v34
	v_fmac_f32_e32 v53, 0x3f167918, v35
	v_add_f32_e32 v67, v67, v74
	v_fmac_f32_e32 v47, 0xbf167918, v35
	v_fmac_f32_e32 v53, 0x3e9e377a, v67
	;; [unrolled: 1-line block ×3, first 2 shown]
	v_add_f32_e32 v67, v85, v91
	v_fmac_f32_e32 v70, -0.5, v67
	v_mov_b32_e32 v74, v70
	v_fmac_f32_e32 v74, 0xbf737871, v35
	v_fmac_f32_e32 v70, 0x3f737871, v35
	;; [unrolled: 1-line block ×4, first 2 shown]
	v_add_f32_e32 v34, v71, v86
	v_add_f32_e32 v34, v34, v88
	v_sub_f32_e32 v67, v87, v85
	v_sub_f32_e32 v93, v89, v91
	v_add_f32_e32 v34, v34, v90
	v_add_f32_e32 v67, v67, v93
	;; [unrolled: 1-line block ×4, first 2 shown]
	v_fma_f32 v94, -0.5, v34, v71
	v_sub_f32_e32 v34, v85, v91
	v_mov_b32_e32 v91, v94
	v_fmac_f32_e32 v74, 0x3e9e377a, v67
	v_fmac_f32_e32 v70, 0x3e9e377a, v67
	;; [unrolled: 1-line block ×3, first 2 shown]
	v_sub_f32_e32 v35, v87, v89
	v_sub_f32_e32 v67, v86, v88
	;; [unrolled: 1-line block ×3, first 2 shown]
	v_fmac_f32_e32 v94, 0x3f737871, v34
	v_fmac_f32_e32 v91, 0xbf167918, v35
	v_add_f32_e32 v67, v67, v85
	v_fmac_f32_e32 v94, 0x3f167918, v35
	v_fmac_f32_e32 v91, 0x3e9e377a, v67
	;; [unrolled: 1-line block ×3, first 2 shown]
	v_add_f32_e32 v67, v86, v92
	v_fmac_f32_e32 v71, -0.5, v67
	v_mov_b32_e32 v89, v71
	v_fmac_f32_e32 v89, 0x3f737871, v35
	v_fmac_f32_e32 v71, 0xbf737871, v35
	;; [unrolled: 1-line block ×4, first 2 shown]
	v_add_f32_e32 v34, v72, v68
	v_add_f32_e32 v34, v79, v34
	v_sub_f32_e32 v67, v88, v86
	v_sub_f32_e32 v85, v90, v92
	v_add_f32_e32 v34, v81, v34
	v_add_f32_e32 v67, v67, v85
	s_waitcnt vmcnt(20)
	v_add_f32_e32 v85, v83, v34
	v_add_f32_e32 v34, v81, v79
	v_fma_f32 v86, -0.5, v34, v68
	v_sub_f32_e32 v34, v73, v84
	v_mov_b32_e32 v35, v86
	v_fmac_f32_e32 v89, 0x3e9e377a, v67
	v_fmac_f32_e32 v71, 0x3e9e377a, v67
	;; [unrolled: 1-line block ×3, first 2 shown]
	v_sub_f32_e32 v67, v80, v82
	v_sub_f32_e32 v87, v72, v79
	;; [unrolled: 1-line block ×3, first 2 shown]
	v_fmac_f32_e32 v86, 0xbf737871, v34
	v_fmac_f32_e32 v35, 0x3f167918, v67
	v_add_f32_e32 v87, v88, v87
	v_fmac_f32_e32 v86, 0xbf167918, v67
	v_fmac_f32_e32 v35, 0x3e9e377a, v87
	;; [unrolled: 1-line block ×3, first 2 shown]
	v_add_f32_e32 v87, v83, v72
	v_fmac_f32_e32 v68, -0.5, v87
	v_mov_b32_e32 v87, v68
	v_fmac_f32_e32 v87, 0xbf737871, v67
	v_fmac_f32_e32 v68, 0x3f737871, v67
	;; [unrolled: 1-line block ×4, first 2 shown]
	v_add_f32_e32 v34, v73, v69
	v_add_f32_e32 v34, v80, v34
	v_sub_f32_e32 v88, v79, v72
	v_sub_f32_e32 v90, v81, v83
	v_add_f32_e32 v34, v82, v34
	v_add_f32_e32 v88, v90, v88
	v_add_f32_e32 v90, v84, v34
	v_add_f32_e32 v34, v82, v80
	v_fmac_f32_e32 v87, 0x3e9e377a, v88
	v_fmac_f32_e32 v68, 0x3e9e377a, v88
	v_fma_f32 v88, -0.5, v34, v69
	v_sub_f32_e32 v34, v72, v83
	v_mov_b32_e32 v67, v88
	v_fmac_f32_e32 v67, 0xbf737871, v34
	v_sub_f32_e32 v72, v79, v81
	v_sub_f32_e32 v79, v73, v80
	;; [unrolled: 1-line block ×3, first 2 shown]
	v_fmac_f32_e32 v88, 0x3f737871, v34
	v_fmac_f32_e32 v67, 0xbf167918, v72
	v_add_f32_e32 v79, v81, v79
	v_fmac_f32_e32 v88, 0x3f167918, v72
	v_fmac_f32_e32 v67, 0x3e9e377a, v79
	;; [unrolled: 1-line block ×3, first 2 shown]
	v_add_f32_e32 v79, v84, v73
	v_fmac_f32_e32 v69, -0.5, v79
	v_mov_b32_e32 v92, v69
	v_sub_f32_e32 v73, v80, v73
	v_sub_f32_e32 v79, v82, v84
	v_fmac_f32_e32 v69, 0xbf737871, v72
	v_fmac_f32_e32 v92, 0x3f737871, v72
	v_add_f32_e32 v73, v79, v73
	v_fmac_f32_e32 v69, 0x3f167918, v34
	s_mov_b32 s6, 0x3f737871
	v_fmac_f32_e32 v92, 0xbf167918, v34
	v_fmac_f32_e32 v69, 0x3e9e377a, v73
	v_mul_f32_e32 v34, 0x3e9e377a, v68
	s_mov_b32 s7, 0x3f167918
	v_fma_f32 v95, v69, s6, -v34
	v_mul_f32_e32 v34, 0x3f4f1bbd, v86
	s_mov_b32 s0, 0xbf737871
	v_fmac_f32_e32 v92, 0x3e9e377a, v73
	v_mul_f32_e32 v73, 0x3e9e377a, v87
	v_fma_f32 v96, v88, s7, -v34
	v_mul_f32_e32 v98, 0xbf737871, v87
	v_mul_f32_e32 v69, 0x3e9e377a, v69
	;; [unrolled: 1-line block ×3, first 2 shown]
	v_fmac_f32_e32 v73, 0x3f737871, v92
	v_add_f32_e32 v83, v47, v96
	v_fmac_f32_e32 v98, 0x3e9e377a, v92
	v_fma_f32 v92, v68, s0, -v69
	v_mul_f32_e32 v69, 0x3f4f1bbd, v88
	v_sub_f32_e32 v88, v47, v96
	s_waitcnt vmcnt(13)
	v_add_f32_e32 v47, v65, v75
	v_fmac_f32_e32 v72, 0x3f167918, v67
	v_mul_f32_e32 v97, 0xbf167918, v35
	v_fma_f32 v47, -0.5, v47, v20
	s_mov_b32 s1, 0xbf167918
	v_add_f32_e32 v79, v44, v85
	v_add_f32_e32 v80, v53, v72
	;; [unrolled: 1-line block ×4, first 2 shown]
	v_fmac_f32_e32 v97, 0x3f4f1bbd, v67
	v_sub_f32_e32 v84, v44, v85
	v_sub_f32_e32 v85, v53, v72
	;; [unrolled: 1-line block ×4, first 2 shown]
	s_waitcnt vmcnt(11)
	v_sub_f32_e32 v53, v33, v78
	v_mov_b32_e32 v90, v47
	v_add_f32_e32 v81, v74, v73
	v_add_f32_e32 v35, v91, v97
	;; [unrolled: 1-line block ×4, first 2 shown]
	v_fma_f32 v99, v86, s1, -v69
	v_sub_f32_e32 v86, v74, v73
	v_sub_f32_e32 v73, v91, v97
	;; [unrolled: 1-line block ×4, first 2 shown]
	v_fmac_f32_e32 v90, 0x3f737871, v53
	v_sub_f32_e32 v89, v66, v76
	v_sub_f32_e32 v91, v32, v65
	;; [unrolled: 1-line block ×3, first 2 shown]
	v_fmac_f32_e32 v47, 0xbf737871, v53
	v_fmac_f32_e32 v90, 0x3f167918, v89
	v_add_f32_e32 v91, v91, v92
	v_fmac_f32_e32 v47, 0xbf167918, v89
	v_fmac_f32_e32 v90, 0x3e9e377a, v91
	;; [unrolled: 1-line block ×3, first 2 shown]
	v_add_f32_e32 v91, v32, v77
	v_add_f32_e32 v44, v20, v32
	v_fmac_f32_e32 v20, -0.5, v91
	v_mov_b32_e32 v91, v20
	v_fmac_f32_e32 v91, 0xbf737871, v89
	v_sub_f32_e32 v92, v65, v32
	v_sub_f32_e32 v93, v75, v77
	v_fmac_f32_e32 v20, 0x3f737871, v89
	v_add_f32_e32 v89, v66, v76
	v_add_f32_e32 v69, v94, v99
	v_sub_f32_e32 v72, v94, v99
	v_add_f32_e32 v44, v44, v65
	v_fmac_f32_e32 v91, 0x3f167918, v53
	v_add_f32_e32 v92, v92, v93
	v_fmac_f32_e32 v20, 0xbf167918, v53
	v_fma_f32 v94, -0.5, v89, v21
	v_add_f32_e32 v44, v44, v75
	v_fmac_f32_e32 v91, 0x3e9e377a, v92
	v_fmac_f32_e32 v20, 0x3e9e377a, v92
	v_sub_f32_e32 v32, v32, v77
	v_mov_b32_e32 v92, v94
	v_add_f32_e32 v44, v44, v77
	v_fmac_f32_e32 v92, 0xbf737871, v32
	v_sub_f32_e32 v65, v65, v75
	v_sub_f32_e32 v75, v33, v66
	;; [unrolled: 1-line block ×3, first 2 shown]
	v_fmac_f32_e32 v94, 0x3f737871, v32
	v_fmac_f32_e32 v92, 0xbf167918, v65
	v_add_f32_e32 v75, v75, v77
	v_fmac_f32_e32 v94, 0x3f167918, v65
	v_fmac_f32_e32 v92, 0x3e9e377a, v75
	;; [unrolled: 1-line block ×3, first 2 shown]
	v_add_f32_e32 v75, v33, v78
	v_add_f32_e32 v53, v21, v33
	v_fmac_f32_e32 v21, -0.5, v75
	v_mov_b32_e32 v75, v21
	v_add_f32_e32 v53, v53, v66
	v_fmac_f32_e32 v75, 0x3f737871, v65
	v_sub_f32_e32 v33, v66, v33
	v_sub_f32_e32 v66, v76, v78
	v_fmac_f32_e32 v21, 0xbf737871, v65
	v_fmac_f32_e32 v75, 0xbf167918, v32
	v_add_f32_e32 v33, v33, v66
	v_fmac_f32_e32 v21, 0x3f167918, v32
	v_fmac_f32_e32 v75, 0x3e9e377a, v33
	;; [unrolled: 1-line block ×3, first 2 shown]
	v_add_f32_e32 v33, v28, v26
	v_fma_f32 v33, -0.5, v33, v22
	v_add_f32_e32 v53, v53, v76
	s_waitcnt vmcnt(10)
	v_sub_f32_e32 v65, v25, v31
	v_mov_b32_e32 v66, v33
	v_add_f32_e32 v53, v53, v78
	v_fmac_f32_e32 v66, 0x3f737871, v65
	v_sub_f32_e32 v76, v27, v29
	v_sub_f32_e32 v77, v24, v26
	;; [unrolled: 1-line block ×3, first 2 shown]
	v_fmac_f32_e32 v33, 0xbf737871, v65
	v_fmac_f32_e32 v66, 0x3f167918, v76
	v_add_f32_e32 v77, v78, v77
	v_fmac_f32_e32 v33, 0xbf167918, v76
	v_fmac_f32_e32 v66, 0x3e9e377a, v77
	;; [unrolled: 1-line block ×3, first 2 shown]
	v_add_f32_e32 v77, v30, v24
	v_add_f32_e32 v32, v24, v22
	v_fmac_f32_e32 v22, -0.5, v77
	v_mov_b32_e32 v77, v22
	v_fmac_f32_e32 v77, 0xbf737871, v76
	v_sub_f32_e32 v78, v26, v24
	v_sub_f32_e32 v89, v28, v30
	v_fmac_f32_e32 v22, 0x3f737871, v76
	v_add_f32_e32 v76, v29, v27
	v_add_f32_e32 v32, v26, v32
	v_fmac_f32_e32 v77, 0x3f167918, v65
	v_add_f32_e32 v78, v89, v78
	v_fmac_f32_e32 v22, 0xbf167918, v65
	v_fma_f32 v76, -0.5, v76, v23
	v_add_f32_e32 v32, v28, v32
	v_fmac_f32_e32 v77, 0x3e9e377a, v78
	v_fmac_f32_e32 v22, 0x3e9e377a, v78
	v_sub_f32_e32 v24, v24, v30
	v_mov_b32_e32 v78, v76
	v_add_f32_e32 v32, v30, v32
	v_fmac_f32_e32 v78, 0xbf737871, v24
	v_sub_f32_e32 v26, v26, v28
	v_sub_f32_e32 v28, v25, v27
	;; [unrolled: 1-line block ×3, first 2 shown]
	v_fmac_f32_e32 v76, 0x3f737871, v24
	v_fmac_f32_e32 v78, 0xbf167918, v26
	v_add_f32_e32 v28, v30, v28
	v_fmac_f32_e32 v76, 0x3f167918, v26
	v_fmac_f32_e32 v78, 0x3e9e377a, v28
	v_fmac_f32_e32 v76, 0x3e9e377a, v28
	v_add_f32_e32 v28, v31, v25
	v_add_f32_e32 v65, v25, v23
	v_fmac_f32_e32 v23, -0.5, v28
	v_add_f32_e32 v65, v27, v65
	v_mov_b32_e32 v89, v23
	v_sub_f32_e32 v25, v27, v25
	v_sub_f32_e32 v27, v29, v31
	v_fmac_f32_e32 v23, 0xbf737871, v26
	v_add_f32_e32 v25, v27, v25
	v_fmac_f32_e32 v23, 0x3f167918, v24
	v_fmac_f32_e32 v23, 0x3e9e377a, v25
	v_mul_f32_e32 v27, 0x3e9e377a, v22
	v_fmac_f32_e32 v89, 0x3f737871, v26
	v_mul_f32_e32 v93, 0x3f4f1bbd, v66
	v_fma_f32 v96, v23, s6, -v27
	v_mul_f32_e32 v23, 0x3e9e377a, v23
	v_fmac_f32_e32 v89, 0xbf167918, v24
	v_fmac_f32_e32 v93, 0x3f167918, v78
	v_mul_f32_e32 v28, 0x3f4f1bbd, v33
	v_mul_f32_e32 v66, 0xbf167918, v66
	v_fma_f32 v99, v22, s0, -v23
	v_mul_f32_e32 v22, 0x3f4f1bbd, v76
	v_fmac_f32_e32 v89, 0x3e9e377a, v25
	v_add_f32_e32 v25, v90, v93
	v_fma_f32 v97, v76, s7, -v28
	v_fmac_f32_e32 v66, 0x3f4f1bbd, v78
	v_add_f32_e32 v78, v21, v99
	v_fma_f32 v76, v33, s1, -v22
	v_sub_f32_e32 v22, v90, v93
	v_sub_f32_e32 v93, v21, v99
	s_waitcnt vmcnt(3)
	v_add_f32_e32 v21, v14, v16
	v_add_f32_e32 v65, v29, v65
	v_mul_f32_e32 v95, 0x3e9e377a, v77
	v_fma_f32 v21, -0.5, v21, v0
	v_add_f32_e32 v65, v31, v65
	v_add_f32_e32 v24, v44, v32
	v_fmac_f32_e32 v95, 0x3f737871, v89
	v_add_f32_e32 v28, v47, v97
	v_sub_f32_e32 v29, v44, v32
	v_sub_f32_e32 v33, v47, v97
	s_waitcnt vmcnt(1)
	v_sub_f32_e32 v44, v13, v19
	v_mov_b32_e32 v47, v21
	v_add_f32_e32 v26, v91, v95
	v_add_f32_e32 v30, v53, v65
	;; [unrolled: 1-line block ×3, first 2 shown]
	v_sub_f32_e32 v23, v91, v95
	v_sub_f32_e32 v90, v53, v65
	;; [unrolled: 1-line block ×3, first 2 shown]
	v_fmac_f32_e32 v47, 0x3f737871, v44
	v_sub_f32_e32 v53, v15, v17
	v_sub_f32_e32 v65, v12, v14
	;; [unrolled: 1-line block ×3, first 2 shown]
	v_fmac_f32_e32 v21, 0xbf737871, v44
	v_fmac_f32_e32 v47, 0x3f167918, v53
	v_add_f32_e32 v65, v65, v66
	v_fmac_f32_e32 v21, 0xbf167918, v53
	v_fmac_f32_e32 v47, 0x3e9e377a, v65
	;; [unrolled: 1-line block ×3, first 2 shown]
	v_add_f32_e32 v65, v12, v18
	v_add_f32_e32 v27, v20, v96
	v_sub_f32_e32 v32, v20, v96
	v_add_f32_e32 v20, v0, v12
	v_fmac_f32_e32 v0, -0.5, v65
	v_mul_f32_e32 v98, 0xbf737871, v77
	v_mov_b32_e32 v65, v0
	v_fmac_f32_e32 v98, 0x3e9e377a, v89
	v_add_f32_e32 v20, v20, v14
	v_fmac_f32_e32 v65, 0xbf737871, v53
	v_fmac_f32_e32 v0, 0x3f737871, v53
	v_add_f32_e32 v53, v15, v17
	v_add_f32_e32 v77, v75, v98
	v_sub_f32_e32 v92, v75, v98
	v_add_f32_e32 v20, v20, v16
	v_sub_f32_e32 v66, v14, v12
	v_sub_f32_e32 v75, v16, v18
	v_fma_f32 v53, -0.5, v53, v1
	v_add_f32_e32 v20, v20, v18
	v_fmac_f32_e32 v65, 0x3f167918, v44
	v_add_f32_e32 v66, v66, v75
	v_fmac_f32_e32 v0, 0xbf167918, v44
	v_sub_f32_e32 v12, v12, v18
	v_mov_b32_e32 v18, v53
	v_fmac_f32_e32 v65, 0x3e9e377a, v66
	v_fmac_f32_e32 v0, 0x3e9e377a, v66
	;; [unrolled: 1-line block ×3, first 2 shown]
	v_sub_f32_e32 v14, v14, v16
	v_sub_f32_e32 v16, v13, v15
	;; [unrolled: 1-line block ×3, first 2 shown]
	v_fmac_f32_e32 v53, 0x3f737871, v12
	v_fmac_f32_e32 v18, 0xbf167918, v14
	v_add_f32_e32 v16, v16, v66
	v_fmac_f32_e32 v53, 0x3f167918, v14
	v_fmac_f32_e32 v18, 0x3e9e377a, v16
	v_fmac_f32_e32 v53, 0x3e9e377a, v16
	v_add_f32_e32 v16, v13, v19
	v_add_f32_e32 v44, v1, v13
	v_fmac_f32_e32 v1, -0.5, v16
	v_mov_b32_e32 v16, v1
	v_add_f32_e32 v44, v44, v15
	v_fmac_f32_e32 v16, 0x3f737871, v14
	v_sub_f32_e32 v13, v15, v13
	v_sub_f32_e32 v15, v17, v19
	v_fmac_f32_e32 v1, 0xbf737871, v14
	v_fmac_f32_e32 v16, 0xbf167918, v12
	v_add_f32_e32 v13, v13, v15
	v_fmac_f32_e32 v1, 0x3f167918, v12
	v_fmac_f32_e32 v16, 0x3e9e377a, v13
	;; [unrolled: 1-line block ×3, first 2 shown]
	v_add_f32_e32 v13, v8, v6
	v_fma_f32 v13, -0.5, v13, v2
	v_add_f32_e32 v44, v44, v17
	s_waitcnt vmcnt(0)
	v_sub_f32_e32 v14, v5, v11
	v_mov_b32_e32 v15, v13
	v_add_f32_e32 v44, v44, v19
	v_fmac_f32_e32 v15, 0x3f737871, v14
	v_sub_f32_e32 v17, v7, v9
	v_sub_f32_e32 v19, v4, v6
	v_sub_f32_e32 v66, v10, v8
	v_fmac_f32_e32 v13, 0xbf737871, v14
	v_fmac_f32_e32 v15, 0x3f167918, v17
	v_add_f32_e32 v19, v66, v19
	v_fmac_f32_e32 v13, 0xbf167918, v17
	v_fmac_f32_e32 v15, 0x3e9e377a, v19
	;; [unrolled: 1-line block ×3, first 2 shown]
	v_add_f32_e32 v19, v10, v4
	v_add_f32_e32 v12, v4, v2
	v_fmac_f32_e32 v2, -0.5, v19
	v_mov_b32_e32 v19, v2
	v_add_f32_e32 v12, v6, v12
	v_fmac_f32_e32 v19, 0xbf737871, v17
	v_fmac_f32_e32 v2, 0x3f737871, v17
	v_add_f32_e32 v17, v9, v7
	v_add_f32_e32 v12, v8, v12
	v_sub_f32_e32 v66, v6, v4
	v_sub_f32_e32 v75, v8, v10
	v_fma_f32 v17, -0.5, v17, v3
	v_add_f32_e32 v12, v10, v12
	v_fmac_f32_e32 v19, 0x3f167918, v14
	v_add_f32_e32 v66, v75, v66
	v_fmac_f32_e32 v2, 0xbf167918, v14
	v_sub_f32_e32 v4, v4, v10
	v_mov_b32_e32 v10, v17
	v_fmac_f32_e32 v19, 0x3e9e377a, v66
	v_fmac_f32_e32 v2, 0x3e9e377a, v66
	v_fmac_f32_e32 v10, 0xbf737871, v4
	v_sub_f32_e32 v6, v6, v8
	v_sub_f32_e32 v8, v5, v7
	;; [unrolled: 1-line block ×3, first 2 shown]
	v_fmac_f32_e32 v17, 0x3f737871, v4
	v_fmac_f32_e32 v10, 0xbf167918, v6
	v_add_f32_e32 v8, v66, v8
	v_fmac_f32_e32 v17, 0x3f167918, v6
	v_fmac_f32_e32 v10, 0x3e9e377a, v8
	;; [unrolled: 1-line block ×3, first 2 shown]
	v_add_f32_e32 v8, v11, v5
	v_add_f32_e32 v14, v5, v3
	v_fmac_f32_e32 v3, -0.5, v8
	v_add_f32_e32 v14, v7, v14
	v_mov_b32_e32 v66, v3
	v_sub_f32_e32 v5, v7, v5
	v_sub_f32_e32 v7, v9, v11
	v_fmac_f32_e32 v3, 0xbf737871, v6
	v_add_f32_e32 v5, v7, v5
	v_fmac_f32_e32 v3, 0x3f167918, v4
	v_add_f32_e32 v14, v9, v14
	v_fmac_f32_e32 v66, 0x3f737871, v6
	v_fmac_f32_e32 v3, 0x3e9e377a, v5
	v_mul_f32_e32 v7, 0x3e9e377a, v2
	v_add_f32_e32 v89, v94, v76
	v_sub_f32_e32 v94, v94, v76
	v_add_f32_e32 v14, v11, v14
	v_fmac_f32_e32 v66, 0xbf167918, v4
	v_mul_f32_e32 v11, 0x3f4f1bbd, v15
	v_fma_f32 v76, v3, s6, -v7
	v_mul_f32_e32 v15, 0xbf167918, v15
	v_fmac_f32_e32 v66, 0x3e9e377a, v5
	v_fmac_f32_e32 v11, 0x3f167918, v10
	v_mul_f32_e32 v75, 0x3e9e377a, v19
	v_add_f32_e32 v7, v0, v76
	v_mul_f32_e32 v8, 0x3f4f1bbd, v13
	v_fmac_f32_e32 v15, 0x3f4f1bbd, v10
	v_mul_f32_e32 v19, 0xbf737871, v19
	v_mul_f32_e32 v3, 0x3e9e377a, v3
	v_sub_f32_e32 v10, v0, v76
	v_mul_u32_u24_e32 v0, 10, v36
	v_fmac_f32_e32 v75, 0x3f737871, v66
	v_fma_f32 v99, v17, s7, -v8
	v_fmac_f32_e32 v19, 0x3e9e377a, v66
	v_fma_f32 v66, v2, s0, -v3
	v_mul_f32_e32 v2, 0x3f4f1bbd, v17
	v_lshl_add_u32 v109, v0, 2, 0
	v_mul_i32_i24_e32 v0, 10, v49
	v_add_f32_e32 v5, v47, v11
	v_add_f32_e32 v8, v21, v99
	v_fma_f32 v13, v13, s1, -v2
	v_sub_f32_e32 v2, v47, v11
	v_sub_f32_e32 v11, v21, v99
	v_lshl_add_u32 v99, v0, 2, 0
	v_mul_i32_i24_e32 v0, 10, v54
	v_lshl_add_u32 v100, v0, 2, 0
	s_movk_i32 s0, 0xffdc
	v_add_f32_e32 v116, v53, v13
	v_sub_f32_e32 v121, v53, v13
	v_mad_i32_i24 v104, v36, s0, v109
	v_mad_i32_i24 v53, v49, s0, v99
	;; [unrolled: 1-line block ×3, first 2 shown]
	s_movk_i32 s0, 0xcd
	s_load_dwordx2 s[4:5], s[4:5], 0x0
	v_add_f32_e32 v4, v20, v12
	v_add_f32_e32 v6, v65, v75
	;; [unrolled: 1-line block ×3, first 2 shown]
	v_sub_f32_e32 v9, v20, v12
	v_sub_f32_e32 v3, v65, v75
	;; [unrolled: 1-line block ×3, first 2 shown]
	ds_write2_b64 v109, v[79:80], v[81:82] offset1:1
	ds_write2_b64 v109, v[83:84], v[85:86] offset0:2 offset1:3
	ds_write_b64 v109, v[87:88] offset:32
	ds_write2_b64 v99, v[24:25], v[26:27] offset1:1
	ds_write2_b64 v99, v[28:29], v[22:23] offset0:2 offset1:3
	ds_write_b64 v99, v[32:33] offset:32
	v_lshl_add_u32 v105, v63, 2, 0
	v_add_u32_e32 v32, 0x1400, v104
	v_add_u32_e32 v102, 0x1c00, v104
	;; [unrolled: 1-line block ×11, first 2 shown]
	v_mul_lo_u16_sdwa v24, v36, s0 dst_sel:DWORD dst_unused:UNUSED_PAD src0_sel:BYTE_0 src1_sel:DWORD
	v_add_f32_e32 v96, v18, v15
	v_add_f32_e32 v97, v16, v19
	;; [unrolled: 1-line block ×3, first 2 shown]
	v_sub_f32_e32 v118, v18, v15
	v_sub_f32_e32 v119, v16, v19
	;; [unrolled: 1-line block ×3, first 2 shown]
	ds_write2_b64 v100, v[4:5], v[6:7] offset1:1
	ds_write2_b64 v100, v[8:9], v[2:3] offset0:2 offset1:3
	ds_write_b64 v100, v[10:11] offset:32
	s_waitcnt lgkmcnt(0)
	s_barrier
	ds_read2st64_b32 v[0:1], v104 offset1:9
	v_lshl_add_u32 v106, v46, 2, 0
	ds_read2_b32 v[8:9], v32 offset0:64 offset1:160
	ds_read2_b32 v[18:19], v102 offset0:128 offset1:224
	ds_read2_b32 v[10:11], v103 offset1:96
	ds_read2st64_b32 v[4:5], v111 offset0:13 offset1:16
	ds_read2_b32 v[14:15], v101 offset1:96
	ds_read2_b32 v[2:3], v110 offset0:64 offset1:160
	ds_read2_b32 v[22:23], v115 offset0:32 offset1:128
	;; [unrolled: 1-line block ×4, first 2 shown]
	v_lshl_add_u32 v107, v59, 2, 0
	ds_read_b32 v124, v105
	ds_read_b32 v138, v106
	;; [unrolled: 1-line block ×3, first 2 shown]
	ds_read2_b32 v[16:17], v112 offset0:64 offset1:160
	ds_read2_b32 v[6:7], v44 offset0:128 offset1:224
	v_lshl_add_u32 v108, v61, 2, 0
	ds_read_b32 v75, v47
	ds_read_b32 v76, v53
	;; [unrolled: 1-line block ×3, first 2 shown]
	s_waitcnt lgkmcnt(0)
	s_barrier
	ds_write2_b64 v109, v[34:35], v[67:68] offset1:1
	ds_write2_b64 v109, v[69:70], v[73:74] offset0:2 offset1:3
	ds_write_b64 v109, v[71:72] offset:32
	ds_write2_b64 v99, v[30:31], v[77:78] offset1:1
	ds_write2_b64 v99, v[89:90], v[91:92] offset0:2 offset1:3
	ds_write_b64 v99, v[93:94] offset:32
	;; [unrolled: 3-line block ×3, first 2 shown]
	v_lshrrev_b16_e32 v34, 11, v24
	v_mul_lo_u16_e32 v24, 10, v34
	v_sub_u16_e32 v35, v36, v24
	v_mov_b32_e32 v24, 5
	v_mul_u32_u24_sdwa v25, v35, v24 dst_sel:DWORD dst_unused:UNUSED_PAD src0_sel:BYTE_0 src1_sel:DWORD
	v_lshlrev_b32_e32 v89, 3, v25
	s_waitcnt lgkmcnt(0)
	s_barrier
	global_load_dwordx4 v[67:70], v89, s[12:13]
	global_load_dwordx4 v[71:74], v89, s[12:13] offset:16
	s_mov_b32 s1, 0xcccd
	v_mul_u32_u24_sdwa v25, v54, s1 dst_sel:DWORD dst_unused:UNUSED_PAD src0_sel:WORD_0 src1_sel:DWORD
	v_lshrrev_b32_e32 v25, 19, v25
	v_mul_lo_u16_e32 v26, 10, v25
	v_sub_u16_e32 v26, v54, v26
	v_mul_u32_u24_e32 v27, 5, v26
	v_lshlrev_b32_e32 v98, 3, v27
	v_mul_u32_u24_sdwa v27, v59, s1 dst_sel:DWORD dst_unused:UNUSED_PAD src0_sel:WORD_0 src1_sel:DWORD
	v_lshrrev_b32_e32 v27, 19, v27
	v_mul_lo_u16_e32 v28, 10, v27
	v_sub_u16_e32 v28, v59, v28
	global_load_dwordx4 v[77:80], v98, s[12:13]
	v_mul_u32_u24_e32 v29, 5, v28
	v_lshlrev_b32_e32 v109, 3, v29
	global_load_dwordx4 v[81:84], v109, s[12:13]
	v_mul_lo_u16_sdwa v29, v49, s0 dst_sel:DWORD dst_unused:UNUSED_PAD src0_sel:BYTE_0 src1_sel:DWORD
	v_lshrrev_b16_e32 v29, 11, v29
	v_mul_lo_u16_e32 v30, 10, v29
	v_sub_u16_e32 v30, v49, v30
	v_mul_u32_u24_sdwa v31, v30, v24 dst_sel:DWORD dst_unused:UNUSED_PAD src0_sel:BYTE_0 src1_sel:DWORD
	v_lshlrev_b32_e32 v139, 3, v31
	global_load_dwordx4 v[85:88], v139, s[12:13] offset:16
	global_load_dwordx4 v[90:93], v98, s[12:13] offset:16
	;; [unrolled: 1-line block ×3, first 2 shown]
	v_mul_u32_u24_sdwa v31, v61, s1 dst_sel:DWORD dst_unused:UNUSED_PAD src0_sel:WORD_0 src1_sel:DWORD
	v_lshrrev_b32_e32 v31, 19, v31
	v_mul_lo_u16_e32 v33, 10, v31
	v_sub_u16_e32 v33, v61, v33
	v_mul_u32_u24_e32 v116, 5, v33
	v_lshlrev_b32_e32 v140, 3, v116
	global_load_dwordx4 v[116:119], v140, s[12:13] offset:16
	ds_read2_b32 v[128:129], v32 offset0:64 offset1:160
	ds_read2_b32 v[130:131], v102 offset0:128 offset1:224
	;; [unrolled: 1-line block ×4, first 2 shown]
	global_load_dwordx2 v[136:137], v89, s[12:13] offset:32
	ds_read_b32 v125, v105
	ds_read_b32 v141, v106
	;; [unrolled: 1-line block ×4, first 2 shown]
	global_load_dwordx4 v[120:123], v140, s[12:13]
	ds_read_b32 v143, v47
	ds_read_b32 v144, v53
	v_mul_u32_u24_e32 v34, 0xf0, v34
	v_cmp_gt_u32_e64 s[0:1], 60, v36
	s_movk_i32 s6, 0x1000
	s_movk_i32 s7, 0x2000
	s_waitcnt vmcnt(9) lgkmcnt(5)
	v_mul_f32_e32 v126, v125, v68
	v_mul_f32_e32 v146, v124, v68
	v_fma_f32 v145, v124, v67, -v126
	v_fmac_f32_e32 v146, v125, v67
	global_load_dwordx4 v[124:127], v139, s[12:13]
	s_waitcnt lgkmcnt(4)
	v_mul_f32_e32 v67, v141, v70
	v_fma_f32 v147, v138, v69, -v67
	v_mul_f32_e32 v138, v138, v70
	s_waitcnt vmcnt(9)
	v_mul_f32_e32 v67, v129, v72
	v_fmac_f32_e32 v138, v141, v69
	v_fma_f32 v141, v9, v71, -v67
	global_load_dwordx2 v[67:68], v139, s[12:13] offset:32
	v_mul_f32_e32 v148, v9, v72
	v_mul_f32_e32 v9, v130, v74
	;; [unrolled: 1-line block ×3, first 2 shown]
	global_load_dwordx2 v[69:70], v98, s[12:13] offset:32
	v_fmac_f32_e32 v148, v129, v71
	global_load_dwordx2 v[71:72], v109, s[12:13] offset:32
	v_fma_f32 v129, v18, v73, -v9
	v_fmac_f32_e32 v149, v130, v73
	global_load_dwordx2 v[73:74], v140, s[12:13] offset:32
	s_waitcnt vmcnt(12)
	v_mul_f32_e32 v9, v132, v78
	v_fma_f32 v130, v22, v77, -v9
	v_mul_f32_e32 v78, v22, v78
	v_mul_f32_e32 v9, v134, v80
	v_fmac_f32_e32 v78, v132, v77
	v_fma_f32 v77, v20, v79, -v9
	s_waitcnt vmcnt(11)
	v_mul_f32_e32 v9, v133, v82
	v_fma_f32 v98, v23, v81, -v9
	v_mul_f32_e32 v82, v23, v82
	v_mul_f32_e32 v9, v135, v84
	;; [unrolled: 1-line block ×3, first 2 shown]
	v_fmac_f32_e32 v82, v133, v81
	v_fma_f32 v81, v21, v83, -v9
	v_mul_f32_e32 v84, v21, v84
	ds_read2_b32 v[20:21], v101 offset1:96
	s_waitcnt vmcnt(10)
	v_mul_f32_e32 v9, v131, v88
	v_fma_f32 v22, v19, v87, -v9
	v_fmac_f32_e32 v84, v135, v83
	v_mul_f32_e32 v23, v19, v88
	s_waitcnt lgkmcnt(0)
	v_mul_f32_e32 v9, v20, v86
	v_fma_f32 v83, v14, v85, -v9
	v_mul_f32_e32 v109, v14, v86
	ds_read2_b32 v[18:19], v114 offset0:64 offset1:160
	s_waitcnt vmcnt(9)
	v_mul_f32_e32 v9, v21, v91
	v_fmac_f32_e32 v109, v20, v85
	v_fma_f32 v20, v15, v90, -v9
	v_mul_f32_e32 v85, v15, v91
	ds_read2_b32 v[14:15], v112 offset0:64 offset1:160
	s_waitcnt lgkmcnt(1)
	v_mul_f32_e32 v9, v18, v93
	v_fmac_f32_e32 v85, v21, v90
	v_fma_f32 v21, v12, v92, -v9
	v_mul_f32_e32 v90, v12, v93
	s_waitcnt vmcnt(8) lgkmcnt(0)
	v_mul_f32_e32 v9, v14, v95
	v_fma_f32 v93, v16, v94, -v9
	v_mul_f32_e32 v95, v16, v95
	v_mul_f32_e32 v9, v19, v97
	v_fmac_f32_e32 v95, v14, v94
	v_fma_f32 v94, v13, v96, -v9
	v_mul_f32_e32 v97, v13, v97
	ds_read2_b32 v[12:13], v103 offset1:96
	s_waitcnt vmcnt(7)
	v_mul_f32_e32 v9, v15, v117
	v_fmac_f32_e32 v23, v131, v87
	v_fma_f32 v131, v17, v116, -v9
	v_mul_f32_e32 v117, v17, v117
	s_waitcnt lgkmcnt(0)
	v_mul_f32_e32 v9, v12, v119
	v_fmac_f32_e32 v117, v15, v116
	v_fma_f32 v116, v10, v118, -v9
	v_mul_f32_e32 v119, v10, v119
	s_waitcnt vmcnt(6)
	v_mul_f32_e32 v9, v13, v137
	v_fmac_f32_e32 v119, v12, v118
	v_fma_f32 v12, v11, v136, -v9
	ds_read2st64_b32 v[9:10], v111 offset0:13 offset1:16
	v_mul_f32_e32 v11, v11, v137
	v_fmac_f32_e32 v11, v13, v136
	s_waitcnt vmcnt(5)
	v_mul_f32_e32 v13, v128, v123
	v_fma_f32 v118, v8, v122, -v13
	v_mul_f32_e32 v123, v8, v123
	s_waitcnt lgkmcnt(0)
	v_mul_f32_e32 v8, v9, v121
	v_mul_f32_e32 v121, v4, v121
	v_fmac_f32_e32 v123, v128, v122
	v_fma_f32 v122, v4, v120, -v8
	v_fmac_f32_e32 v121, v9, v120
	ds_read2st64_b32 v[8:9], v104 offset1:9
	s_waitcnt vmcnt(4)
	v_mul_f32_e32 v4, v10, v127
	v_fma_f32 v13, v5, v126, -v4
	v_mul_f32_e32 v14, v5, v127
	ds_read2_b32 v[4:5], v110 offset0:64 offset1:160
	v_fmac_f32_e32 v14, v10, v126
	s_waitcnt lgkmcnt(1)
	v_mul_f32_e32 v10, v9, v125
	v_fma_f32 v10, v1, v124, -v10
	v_mul_f32_e32 v16, v1, v125
	s_waitcnt vmcnt(3) lgkmcnt(0)
	v_mul_f32_e32 v1, v4, v68
	v_fmac_f32_e32 v16, v9, v124
	v_fma_f32 v9, v2, v67, -v1
	v_mul_f32_e32 v15, v2, v68
	ds_read2_b32 v[1:2], v44 offset0:128 offset1:224
	v_fmac_f32_e32 v15, v4, v67
	s_waitcnt vmcnt(2)
	v_mul_f32_e32 v4, v5, v70
	v_fma_f32 v17, v3, v69, -v4
	v_mul_f32_e32 v67, v3, v70
	s_waitcnt vmcnt(1) lgkmcnt(0)
	v_mul_f32_e32 v3, v1, v72
	v_mul_f32_e32 v120, v6, v72
	s_waitcnt vmcnt(0)
	v_mul_f32_e32 v125, v7, v74
	v_fmac_f32_e32 v97, v19, v96
	v_fma_f32 v96, v6, v71, -v3
	v_fmac_f32_e32 v120, v1, v71
	v_mul_f32_e32 v1, v2, v74
	v_fmac_f32_e32 v125, v2, v73
	v_add_f32_e32 v2, v147, v129
	v_add_f32_e32 v3, v141, v12
	v_fma_f32 v124, v7, v73, -v1
	v_add_f32_e32 v1, v0, v147
	v_fmac_f32_e32 v0, -0.5, v2
	v_add_f32_e32 v2, v145, v141
	v_fmac_f32_e32 v145, -0.5, v3
	v_add_f32_e32 v4, v148, v11
	v_sub_f32_e32 v7, v148, v11
	v_fmac_f32_e32 v90, v18, v92
	v_add_f32_e32 v3, v146, v148
	v_fmac_f32_e32 v146, -0.5, v4
	v_mov_b32_e32 v18, v145
	v_fmac_f32_e32 v145, 0xbf5db3d7, v7
	v_sub_f32_e32 v19, v141, v12
	v_fmac_f32_e32 v67, v5, v69
	v_sub_f32_e32 v4, v138, v149
	v_mov_b32_e32 v68, v146
	v_fmac_f32_e32 v146, 0x3f5db3d7, v19
	v_mul_f32_e32 v5, -0.5, v145
	v_mov_b32_e32 v6, v0
	v_fmac_f32_e32 v0, 0xbf5db3d7, v4
	v_fmac_f32_e32 v5, 0x3f5db3d7, v146
	;; [unrolled: 1-line block ×3, first 2 shown]
	v_add_f32_e32 v79, v0, v5
	v_sub_f32_e32 v5, v0, v5
	v_add_f32_e32 v0, v8, v138
	v_fmac_f32_e32 v6, 0x3f5db3d7, v4
	v_add_f32_e32 v4, v0, v149
	v_add_f32_e32 v0, v138, v149
	v_fmac_f32_e32 v8, -0.5, v0
	v_add_f32_e32 v0, v1, v129
	v_sub_f32_e32 v1, v147, v129
	v_mov_b32_e32 v69, v8
	v_fmac_f32_e32 v18, 0x3f5db3d7, v7
	v_fmac_f32_e32 v69, 0xbf5db3d7, v1
	;; [unrolled: 1-line block ×3, first 2 shown]
	v_add_f32_e32 v1, v2, v12
	v_add_f32_e32 v2, v3, v11
	v_fmac_f32_e32 v68, 0xbf5db3d7, v19
	v_mul_f32_e32 v11, 0xbf5db3d7, v18
	v_mul_f32_e32 v3, 0x3f5db3d7, v68
	v_fmac_f32_e32 v11, 0.5, v68
	v_mul_f32_e32 v12, -0.5, v146
	v_fmac_f32_e32 v3, 0.5, v18
	v_add_f32_e32 v86, v0, v1
	v_fmac_f32_e32 v12, 0xbf5db3d7, v145
	v_sub_f32_e32 v87, v0, v1
	v_add_f32_e32 v0, v4, v2
	v_add_f32_e32 v1, v69, v11
	v_sub_f32_e32 v2, v4, v2
	v_sub_f32_e32 v4, v69, v11
	v_add_f32_e32 v11, v13, v22
	v_add_f32_e32 v88, v6, v3
	v_sub_f32_e32 v7, v6, v3
	v_add_f32_e32 v3, v8, v12
	v_sub_f32_e32 v6, v8, v12
	v_add_f32_e32 v8, v76, v13
	v_fmac_f32_e32 v76, -0.5, v11
	v_sub_f32_e32 v11, v14, v23
	v_mov_b32_e32 v12, v76
	v_fmac_f32_e32 v12, 0x3f5db3d7, v11
	v_fmac_f32_e32 v76, 0xbf5db3d7, v11
	v_add_f32_e32 v11, v144, v14
	v_add_f32_e32 v14, v14, v23
	v_fmac_f32_e32 v144, -0.5, v14
	v_add_f32_e32 v11, v11, v23
	v_sub_f32_e32 v13, v13, v22
	v_mov_b32_e32 v23, v144
	v_add_f32_e32 v14, v83, v9
	v_fmac_f32_e32 v23, 0xbf5db3d7, v13
	v_fmac_f32_e32 v144, 0x3f5db3d7, v13
	v_add_f32_e32 v13, v10, v83
	v_fmac_f32_e32 v10, -0.5, v14
	v_sub_f32_e32 v14, v109, v15
	v_mov_b32_e32 v18, v10
	v_fmac_f32_e32 v18, 0x3f5db3d7, v14
	v_fmac_f32_e32 v10, 0xbf5db3d7, v14
	v_add_f32_e32 v14, v16, v109
	v_add_f32_e32 v68, v14, v15
	;; [unrolled: 1-line block ×3, first 2 shown]
	v_fmac_f32_e32 v16, -0.5, v14
	v_add_f32_e32 v13, v13, v9
	v_sub_f32_e32 v9, v83, v9
	v_mov_b32_e32 v19, v16
	v_fmac_f32_e32 v19, 0xbf5db3d7, v9
	v_add_f32_e32 v8, v8, v22
	v_fmac_f32_e32 v16, 0x3f5db3d7, v9
	v_mul_f32_e32 v9, 0x3f5db3d7, v19
	v_mul_f32_e32 v69, 0xbf5db3d7, v18
	v_add_f32_e32 v14, v8, v13
	v_fmac_f32_e32 v9, 0.5, v18
	v_fmac_f32_e32 v69, 0.5, v19
	v_sub_f32_e32 v18, v8, v13
	v_add_f32_e32 v8, v11, v68
	v_sub_f32_e32 v11, v11, v68
	v_add_f32_e32 v68, v77, v21
	v_add_f32_e32 v15, v12, v9
	v_sub_f32_e32 v19, v12, v9
	v_add_f32_e32 v9, v23, v69
	v_sub_f32_e32 v12, v23, v69
	v_add_f32_e32 v23, v75, v77
	v_fmac_f32_e32 v75, -0.5, v68
	v_sub_f32_e32 v68, v80, v90
	v_mov_b32_e32 v71, v75
	v_fmac_f32_e32 v71, 0x3f5db3d7, v68
	v_fmac_f32_e32 v75, 0xbf5db3d7, v68
	v_add_f32_e32 v68, v143, v80
	v_add_f32_e32 v73, v68, v90
	;; [unrolled: 1-line block ×3, first 2 shown]
	v_fmac_f32_e32 v143, -0.5, v68
	v_add_f32_e32 v23, v23, v21
	v_sub_f32_e32 v21, v77, v21
	v_mov_b32_e32 v74, v143
	v_add_f32_e32 v68, v20, v17
	v_fmac_f32_e32 v74, 0xbf5db3d7, v21
	v_fmac_f32_e32 v143, 0x3f5db3d7, v21
	v_add_f32_e32 v21, v130, v20
	v_fmac_f32_e32 v130, -0.5, v68
	v_mul_f32_e32 v22, -0.5, v10
	v_sub_f32_e32 v68, v85, v67
	v_mov_b32_e32 v69, v130
	v_fmac_f32_e32 v22, 0x3f5db3d7, v16
	v_fmac_f32_e32 v69, 0x3f5db3d7, v68
	;; [unrolled: 1-line block ×3, first 2 shown]
	v_add_f32_e32 v68, v78, v85
	v_mul_f32_e32 v70, -0.5, v16
	v_add_f32_e32 v16, v76, v22
	v_sub_f32_e32 v22, v76, v22
	v_add_f32_e32 v76, v68, v67
	v_add_f32_e32 v67, v85, v67
	v_fmac_f32_e32 v78, -0.5, v67
	v_fmac_f32_e32 v70, 0xbf5db3d7, v10
	v_add_f32_e32 v21, v21, v17
	v_sub_f32_e32 v17, v20, v17
	v_mov_b32_e32 v20, v78
	v_add_f32_e32 v10, v144, v70
	v_sub_f32_e32 v13, v144, v70
	v_fmac_f32_e32 v20, 0xbf5db3d7, v17
	v_fmac_f32_e32 v78, 0x3f5db3d7, v17
	v_add_f32_e32 v67, v23, v21
	v_sub_f32_e32 v70, v23, v21
	v_add_f32_e32 v17, v73, v76
	v_sub_f32_e32 v23, v73, v76
	v_add_f32_e32 v73, v66, v81
	v_mul_f32_e32 v77, 0xbf5db3d7, v69
	v_add_f32_e32 v76, v73, v94
	v_add_f32_e32 v73, v81, v94
	v_fmac_f32_e32 v77, 0.5, v20
	v_fmac_f32_e32 v66, -0.5, v73
	v_mul_f32_e32 v72, 0x3f5db3d7, v20
	v_mul_f32_e32 v80, -0.5, v130
	v_add_f32_e32 v20, v74, v77
	v_sub_f32_e32 v91, v74, v77
	v_sub_f32_e32 v73, v84, v97
	v_mov_b32_e32 v77, v66
	v_fmac_f32_e32 v72, 0.5, v69
	v_fmac_f32_e32 v80, 0x3f5db3d7, v78
	v_fmac_f32_e32 v77, 0x3f5db3d7, v73
	;; [unrolled: 1-line block ×3, first 2 shown]
	v_add_f32_e32 v73, v142, v84
	v_add_f32_e32 v68, v71, v72
	;; [unrolled: 1-line block ×3, first 2 shown]
	v_sub_f32_e32 v71, v71, v72
	v_sub_f32_e32 v72, v75, v80
	v_add_f32_e32 v80, v73, v97
	v_add_f32_e32 v73, v84, v97
	v_fmac_f32_e32 v142, -0.5, v73
	v_mul_f32_e32 v78, -0.5, v78
	v_sub_f32_e32 v73, v81, v94
	v_mov_b32_e32 v81, v142
	v_fmac_f32_e32 v78, 0xbf5db3d7, v130
	v_fmac_f32_e32 v81, 0xbf5db3d7, v73
	;; [unrolled: 1-line block ×3, first 2 shown]
	v_add_f32_e32 v73, v98, v93
	v_add_f32_e32 v21, v143, v78
	v_sub_f32_e32 v92, v143, v78
	v_add_f32_e32 v78, v73, v96
	v_add_f32_e32 v73, v93, v96
	v_fmac_f32_e32 v98, -0.5, v73
	v_sub_f32_e32 v73, v95, v120
	v_mov_b32_e32 v75, v98
	v_fmac_f32_e32 v75, 0x3f5db3d7, v73
	v_fmac_f32_e32 v98, 0xbf5db3d7, v73
	v_add_f32_e32 v73, v82, v95
	v_add_f32_e32 v83, v73, v120
	;; [unrolled: 1-line block ×3, first 2 shown]
	v_fmac_f32_e32 v82, -0.5, v73
	v_sub_f32_e32 v73, v93, v96
	v_mov_b32_e32 v84, v82
	v_fmac_f32_e32 v84, 0xbf5db3d7, v73
	v_mul_f32_e32 v90, 0xbf5db3d7, v75
	v_add_f32_e32 v93, v80, v83
	v_sub_f32_e32 v95, v80, v83
	v_add_f32_e32 v80, v65, v118
	v_fmac_f32_e32 v82, 0x3f5db3d7, v73
	v_mul_f32_e32 v85, 0x3f5db3d7, v84
	v_fmac_f32_e32 v90, 0.5, v84
	v_mul_f32_e32 v84, -0.5, v98
	v_add_f32_e32 v83, v80, v116
	v_add_f32_e32 v80, v118, v116
	v_fmac_f32_e32 v84, 0x3f5db3d7, v82
	v_fmac_f32_e32 v65, -0.5, v80
	v_add_f32_e32 v73, v76, v78
	v_fmac_f32_e32 v85, 0.5, v75
	v_add_f32_e32 v75, v66, v84
	v_sub_f32_e32 v76, v76, v78
	v_sub_f32_e32 v78, v66, v84
	;; [unrolled: 1-line block ×3, first 2 shown]
	v_mov_b32_e32 v84, v65
	v_fmac_f32_e32 v84, 0x3f5db3d7, v80
	v_fmac_f32_e32 v65, 0xbf5db3d7, v80
	v_add_f32_e32 v80, v89, v123
	v_add_f32_e32 v94, v81, v90
	v_sub_f32_e32 v96, v81, v90
	v_add_f32_e32 v90, v80, v119
	v_add_f32_e32 v80, v123, v119
	v_fmac_f32_e32 v89, -0.5, v80
	v_sub_f32_e32 v80, v118, v116
	v_mov_b32_e32 v116, v89
	v_fmac_f32_e32 v116, 0xbf5db3d7, v80
	v_fmac_f32_e32 v89, 0x3f5db3d7, v80
	v_add_f32_e32 v80, v122, v131
	v_add_f32_e32 v74, v77, v85
	v_mul_f32_e32 v82, -0.5, v82
	v_sub_f32_e32 v77, v77, v85
	v_add_f32_e32 v85, v80, v124
	v_add_f32_e32 v80, v131, v124
	v_fmac_f32_e32 v82, 0xbf5db3d7, v98
	v_fmac_f32_e32 v122, -0.5, v80
	v_add_f32_e32 v66, v142, v82
	v_sub_f32_e32 v97, v142, v82
	v_sub_f32_e32 v80, v117, v125
	v_mov_b32_e32 v82, v122
	v_fmac_f32_e32 v82, 0x3f5db3d7, v80
	v_fmac_f32_e32 v122, 0xbf5db3d7, v80
	v_add_f32_e32 v80, v121, v117
	v_add_f32_e32 v118, v80, v125
	;; [unrolled: 1-line block ×3, first 2 shown]
	v_fmac_f32_e32 v121, -0.5, v80
	v_sub_f32_e32 v80, v131, v124
	v_mov_b32_e32 v98, v121
	v_fmac_f32_e32 v98, 0xbf5db3d7, v80
	v_fmac_f32_e32 v121, 0x3f5db3d7, v80
	v_mul_f32_e32 v109, 0x3f5db3d7, v98
	v_mul_f32_e32 v117, 0xbf5db3d7, v82
	v_mul_f32_e32 v119, -0.5, v122
	v_fmac_f32_e32 v109, 0.5, v82
	v_fmac_f32_e32 v117, 0.5, v98
	v_fmac_f32_e32 v119, 0x3f5db3d7, v121
	v_add_f32_e32 v80, v83, v85
	v_add_f32_e32 v81, v84, v109
	;; [unrolled: 1-line block ×3, first 2 shown]
	v_sub_f32_e32 v83, v83, v85
	v_sub_f32_e32 v84, v84, v109
	v_add_f32_e32 v109, v116, v117
	v_sub_f32_e32 v85, v65, v119
	v_sub_f32_e32 v119, v116, v117
	v_mov_b32_e32 v116, 2
	v_lshlrev_b32_sdwa v35, v116, v35 dst_sel:DWORD dst_unused:UNUSED_PAD src0_sel:DWORD src1_sel:BYTE_0
	v_add3_u32 v34, 0, v34, v35
	s_barrier
	ds_write2_b32 v34, v86, v88 offset1:10
	ds_write2_b32 v34, v79, v87 offset0:20 offset1:30
	ds_write2_b32 v34, v7, v5 offset0:40 offset1:50
	v_mul_u32_u24_e32 v5, 0xf0, v29
	v_lshlrev_b32_sdwa v7, v116, v30 dst_sel:DWORD dst_unused:UNUSED_PAD src0_sel:DWORD src1_sel:BYTE_0
	v_add3_u32 v5, 0, v5, v7
	ds_write2_b32 v5, v14, v15 offset1:10
	ds_write2_b32 v5, v16, v18 offset0:20 offset1:30
	ds_write2_b32 v5, v19, v22 offset0:40 offset1:50
	v_mul_u32_u24_e32 v7, 0xf0, v25
	v_lshlrev_b32_e32 v14, 2, v26
	v_add3_u32 v7, 0, v7, v14
	v_mul_u32_u24_e32 v14, 0xf0, v27
	v_lshlrev_b32_e32 v15, 2, v28
	v_mul_f32_e32 v120, -0.5, v121
	v_add3_u32 v14, 0, v14, v15
	v_mul_u32_u24_e32 v15, 0xf0, v31
	v_lshlrev_b32_e32 v16, 2, v33
	v_fmac_f32_e32 v120, 0xbf5db3d7, v122
	v_add3_u32 v15, 0, v15, v16
	v_add_f32_e32 v98, v90, v118
	v_add_f32_e32 v65, v89, v120
	v_sub_f32_e32 v118, v90, v118
	v_sub_f32_e32 v121, v89, v120
	ds_write2_b32 v7, v67, v68 offset1:10
	ds_write2_b32 v7, v69, v70 offset0:20 offset1:30
	ds_write2_b32 v7, v71, v72 offset0:40 offset1:50
	ds_write2_b32 v14, v73, v74 offset1:10
	ds_write2_b32 v14, v75, v76 offset0:20 offset1:30
	ds_write2_b32 v14, v77, v78 offset0:40 offset1:50
	;; [unrolled: 3-line block ×3, first 2 shown]
	s_waitcnt lgkmcnt(0)
	s_barrier
	ds_read2st64_b32 v[67:68], v104 offset1:9
	ds_read2_b32 v[75:76], v32 offset0:64 offset1:160
	ds_read2_b32 v[89:90], v102 offset0:128 offset1:224
	ds_read2_b32 v[77:78], v103 offset1:96
	ds_read2st64_b32 v[73:74], v111 offset0:13 offset1:16
	ds_read2_b32 v[87:88], v101 offset1:96
	ds_read2_b32 v[69:70], v110 offset0:64 offset1:160
	ds_read2_b32 v[85:86], v115 offset0:32 offset1:128
	;; [unrolled: 1-line block ×4, first 2 shown]
	ds_read_b32 v133, v105
	ds_read_b32 v132, v106
	;; [unrolled: 1-line block ×3, first 2 shown]
	ds_read2_b32 v[79:80], v112 offset0:64 offset1:160
	ds_read2_b32 v[71:72], v44 offset0:128 offset1:224
	ds_read_b32 v127, v47
	ds_read_b32 v130, v53
	;; [unrolled: 1-line block ×3, first 2 shown]
	s_waitcnt lgkmcnt(0)
	s_barrier
	ds_write2_b32 v34, v0, v1 offset1:10
	ds_write2_b32 v34, v3, v2 offset0:20 offset1:30
	ds_write2_b32 v34, v4, v6 offset0:40 offset1:50
	ds_write2_b32 v5, v8, v9 offset1:10
	ds_write2_b32 v5, v10, v11 offset0:20 offset1:30
	ds_write2_b32 v5, v12, v13 offset0:40 offset1:50
	;; [unrolled: 3-line block ×5, first 2 shown]
	v_subrev_u32_e32 v0, 60, v36
	v_cndmask_b32_e64 v131, v0, v36, s[0:1]
	v_mul_i32_i24_e32 v65, 5, v131
	v_mov_b32_e32 v66, 0
	v_lshlrev_b64 v[0:1], 3, v[65:66]
	v_mov_b32_e32 v109, s13
	v_add_co_u32_e64 v33, s[0:1], s12, v0
	v_addc_co_u32_e64 v34, s[0:1], v109, v1, s[0:1]
	s_waitcnt lgkmcnt(0)
	s_barrier
	global_load_dwordx4 v[4:7], v[33:34], off offset:400
	global_load_dwordx4 v[0:3], v[33:34], off offset:416
	s_movk_i32 s0, 0x89
	v_mul_lo_u16_sdwa v8, v49, s0 dst_sel:DWORD dst_unused:UNUSED_PAD src0_sel:BYTE_0 src1_sel:DWORD
	v_lshrrev_b16_e32 v128, 13, v8
	v_mul_lo_u16_e32 v8, 60, v128
	v_sub_u16_e32 v129, v49, v8
	v_mul_u32_u24_sdwa v8, v129, v24 dst_sel:DWORD dst_unused:UNUSED_PAD src0_sel:BYTE_0 src1_sel:DWORD
	v_lshlrev_b32_e32 v134, 3, v8
	global_load_dwordx4 v[8:11], v134, s[12:13] offset:416
	s_mov_b32 s0, 0x8889
	v_mul_u32_u24_sdwa v12, v54, s0 dst_sel:DWORD dst_unused:UNUSED_PAD src0_sel:WORD_0 src1_sel:DWORD
	v_lshrrev_b32_e32 v123, 21, v12
	v_mul_lo_u16_e32 v12, 60, v123
	v_sub_u16_e32 v124, v54, v12
	v_mul_u32_u24_sdwa v20, v59, s0 dst_sel:DWORD dst_unused:UNUSED_PAD src0_sel:WORD_0 src1_sel:DWORD
	v_mul_u32_u24_e32 v12, 5, v124
	v_lshrrev_b32_e32 v121, 21, v20
	v_lshlrev_b32_e32 v136, 3, v12
	v_mul_lo_u16_e32 v20, 60, v121
	global_load_dwordx4 v[16:19], v136, s[12:13] offset:400
	global_load_dwordx4 v[12:15], v136, s[12:13] offset:416
	v_sub_u16_e32 v122, v59, v20
	v_mul_u32_u24_e32 v20, 5, v122
	v_mul_u32_u24_sdwa v28, v61, s0 dst_sel:DWORD dst_unused:UNUSED_PAD src0_sel:WORD_0 src1_sel:DWORD
	v_lshlrev_b32_e32 v138, 3, v20
	v_lshrrev_b32_e32 v125, 21, v28
	global_load_dwordx4 v[24:27], v138, s[12:13] offset:400
	global_load_dwordx4 v[20:23], v138, s[12:13] offset:416
	v_mul_lo_u16_e32 v28, 60, v125
	v_sub_u16_e32 v126, v61, v28
	v_mul_u32_u24_e32 v28, 5, v126
	v_lshlrev_b32_e32 v139, 3, v28
	global_load_dwordx4 v[28:31], v139, s[12:13] offset:416
	ds_read2_b32 v[91:92], v32 offset0:64 offset1:160
	ds_read2_b32 v[97:98], v102 offset0:128 offset1:224
	ds_read2_b32 v[95:96], v101 offset1:96
	global_load_dwordx2 v[93:94], v[33:34], off offset:432
	ds_read_b32 v140, v105
	ds_read_b32 v141, v106
	;; [unrolled: 1-line block ×4, first 2 shown]
	global_load_dwordx4 v[32:35], v139, s[12:13] offset:400
	ds_read_b32 v119, v47
	ds_read_b32 v135, v53
	global_load_dwordx2 v[144:145], v134, s[12:13] offset:432
	v_cmp_lt_u32_e64 s[0:1], 59, v36
	s_waitcnt vmcnt(10) lgkmcnt(5)
	v_mul_f32_e32 v137, v140, v5
	v_fma_f32 v137, v133, v4, -v137
	v_mul_f32_e32 v133, v133, v5
	v_fmac_f32_e32 v133, v140, v4
	s_waitcnt lgkmcnt(4)
	v_mul_f32_e32 v4, v141, v7
	v_fma_f32 v150, v132, v6, -v4
	v_mul_f32_e32 v132, v132, v7
	v_fmac_f32_e32 v132, v141, v6
	global_load_dwordx4 v[140:143], v134, s[12:13] offset:400
	s_waitcnt vmcnt(10)
	v_mul_f32_e32 v4, v92, v1
	ds_read2_b32 v[6:7], v115 offset0:32 offset1:128
	v_fma_f32 v115, v76, v0, -v4
	v_mul_f32_e32 v76, v76, v1
	v_fmac_f32_e32 v76, v92, v0
	v_mul_f32_e32 v0, v97, v3
	v_fma_f32 v151, v89, v2, -v0
	v_mul_f32_e32 v152, v89, v3
	ds_read2_b32 v[0:1], v113 offset0:128 offset1:224
	ds_read2_b32 v[113:114], v114 offset0:64 offset1:160
	global_load_dwordx2 v[146:147], v136, s[12:13] offset:432
	global_load_dwordx2 v[148:149], v138, s[12:13] offset:432
	v_fmac_f32_e32 v152, v97, v2
	s_waitcnt vmcnt(11)
	v_mul_f32_e32 v2, v95, v9
	v_mul_f32_e32 v136, v87, v9
	v_fma_f32 v134, v87, v8, -v2
	v_fmac_f32_e32 v136, v95, v8
	global_load_dwordx2 v[8:9], v139, s[12:13] offset:432
	v_mul_f32_e32 v2, v98, v11
	v_mul_f32_e32 v97, v90, v11
	v_fma_f32 v89, v90, v10, -v2
	v_fmac_f32_e32 v97, v98, v10
	s_waitcnt vmcnt(11) lgkmcnt(2)
	v_mul_f32_e32 v2, v6, v17
	v_mul_f32_e32 v87, v83, v19
	ds_read2_b32 v[10:11], v112 offset0:64 offset1:160
	v_fma_f32 v4, v85, v16, -v2
	v_mul_f32_e32 v5, v85, v17
	s_waitcnt lgkmcnt(2)
	v_mul_f32_e32 v2, v0, v19
	v_fmac_f32_e32 v87, v0, v18
	s_waitcnt vmcnt(10)
	v_mul_f32_e32 v0, v96, v13
	v_fmac_f32_e32 v5, v6, v16
	v_fma_f32 v16, v88, v12, -v0
	s_waitcnt lgkmcnt(1)
	v_mul_f32_e32 v0, v113, v15
	v_mul_f32_e32 v17, v88, v13
	v_fma_f32 v88, v81, v14, -v0
	s_waitcnt vmcnt(9)
	v_mul_f32_e32 v0, v7, v25
	v_fma_f32 v85, v83, v18, -v2
	v_fma_f32 v2, v86, v24, -v0
	v_mul_f32_e32 v3, v86, v25
	v_mul_f32_e32 v0, v1, v27
	v_mul_f32_e32 v95, v81, v15
	v_fmac_f32_e32 v3, v7, v24
	v_fma_f32 v7, v84, v26, -v0
	s_waitcnt vmcnt(8) lgkmcnt(0)
	v_mul_f32_e32 v0, v10, v21
	v_fmac_f32_e32 v95, v113, v14
	v_mul_f32_e32 v83, v84, v27
	v_fma_f32 v14, v79, v20, -v0
	v_mul_f32_e32 v0, v114, v23
	v_fmac_f32_e32 v83, v1, v26
	v_fma_f32 v86, v82, v22, -v0
	ds_read2_b32 v[0:1], v103 offset1:96
	v_mul_f32_e32 v15, v79, v21
	s_waitcnt vmcnt(7)
	v_mul_f32_e32 v19, v80, v29
	v_fmac_f32_e32 v15, v10, v20
	v_mul_f32_e32 v6, v11, v29
	v_fmac_f32_e32 v19, v11, v28
	ds_read2st64_b32 v[10:11], v111 offset0:13 offset1:16
	v_fma_f32 v18, v80, v28, -v6
	v_mul_f32_e32 v80, v77, v31
	s_waitcnt lgkmcnt(1)
	v_mul_f32_e32 v6, v0, v31
	v_fmac_f32_e32 v80, v0, v30
	s_waitcnt vmcnt(6)
	v_mul_f32_e32 v0, v1, v94
	v_fma_f32 v20, v78, v93, -v0
	s_waitcnt vmcnt(5)
	v_mul_f32_e32 v0, v91, v35
	v_mul_f32_e32 v21, v78, v94
	v_fma_f32 v84, v75, v34, -v0
	s_waitcnt lgkmcnt(0)
	v_mul_f32_e32 v0, v10, v33
	v_fmac_f32_e32 v21, v1, v93
	v_fma_f32 v81, v73, v32, -v0
	ds_read2st64_b32 v[0:1], v104 offset1:9
	v_mul_f32_e32 v92, v82, v23
	v_mul_f32_e32 v82, v73, v33
	v_fmac_f32_e32 v82, v10, v32
	v_fmac_f32_e32 v17, v96, v12
	;; [unrolled: 1-line block ×3, first 2 shown]
	v_mul_f32_e32 v90, v75, v35
	v_fmac_f32_e32 v90, v91, v34
	v_add_f32_e32 v23, v115, v20
	v_fma_f32 v6, v77, v30, -v6
	v_add_f32_e32 v30, v85, v88
	s_waitcnt vmcnt(3)
	v_mul_f32_e32 v10, v11, v143
	v_mul_f32_e32 v111, v74, v143
	v_fma_f32 v98, v74, v142, -v10
	v_fmac_f32_e32 v111, v11, v142
	ds_read2_b32 v[10:11], v110 offset0:64 offset1:160
	s_waitcnt lgkmcnt(1)
	v_mul_f32_e32 v12, v1, v141
	v_fma_f32 v94, v68, v140, -v12
	ds_read2_b32 v[12:13], v44 offset0:128 offset1:224
	v_mul_f32_e32 v96, v68, v141
	v_fmac_f32_e32 v96, v1, v140
	s_waitcnt lgkmcnt(1)
	v_mul_f32_e32 v1, v10, v145
	v_fma_f32 v22, v69, v144, -v1
	v_mul_f32_e32 v110, v69, v145
	s_waitcnt vmcnt(2)
	v_mul_f32_e32 v1, v11, v147
	v_fmac_f32_e32 v110, v10, v144
	v_fma_f32 v10, v70, v146, -v1
	v_mul_f32_e32 v93, v70, v147
	s_waitcnt vmcnt(1) lgkmcnt(0)
	v_mul_f32_e32 v1, v12, v149
	v_fmac_f32_e32 v93, v11, v146
	v_fma_f32 v11, v71, v148, -v1
	v_mul_f32_e32 v91, v71, v149
	s_waitcnt vmcnt(0)
	v_mul_f32_e32 v1, v13, v9
	v_fmac_f32_e32 v91, v12, v148
	v_fma_f32 v12, v72, v8, -v1
	v_mul_f32_e32 v1, v72, v9
	v_add_f32_e32 v9, v150, v151
	v_fmac_f32_e32 v1, v13, v8
	v_add_f32_e32 v8, v67, v150
	v_fmac_f32_e32 v67, -0.5, v9
	v_sub_f32_e32 v9, v132, v152
	v_mov_b32_e32 v13, v67
	v_fmac_f32_e32 v13, 0x3f5db3d7, v9
	v_fmac_f32_e32 v67, 0xbf5db3d7, v9
	v_add_f32_e32 v9, v0, v132
	v_add_f32_e32 v113, v9, v152
	;; [unrolled: 1-line block ×3, first 2 shown]
	v_fmac_f32_e32 v0, -0.5, v9
	v_add_f32_e32 v9, v137, v115
	v_fmac_f32_e32 v137, -0.5, v23
	v_sub_f32_e32 v23, v76, v21
	v_mov_b32_e32 v24, v137
	v_fmac_f32_e32 v24, 0x3f5db3d7, v23
	v_fmac_f32_e32 v137, 0xbf5db3d7, v23
	v_add_f32_e32 v23, v133, v76
	v_add_f32_e32 v138, v23, v21
	v_add_f32_e32 v21, v76, v21
	v_fmac_f32_e32 v133, -0.5, v21
	v_add_f32_e32 v9, v9, v20
	v_sub_f32_e32 v20, v115, v20
	v_mov_b32_e32 v21, v133
	v_fmac_f32_e32 v21, 0xbf5db3d7, v20
	v_mul_f32_e32 v23, 0x3f5db3d7, v21
	v_add_f32_e32 v8, v8, v151
	v_fmac_f32_e32 v23, 0.5, v24
	v_fmac_f32_e32 v133, 0x3f5db3d7, v20
	v_add_f32_e32 v20, v8, v9
	v_add_f32_e32 v25, v13, v23
	v_mul_f32_e32 v26, -0.5, v137
	v_mul_f32_e32 v115, 0xbf5db3d7, v24
	v_sub_f32_e32 v8, v8, v9
	v_sub_f32_e32 v9, v13, v23
	v_add_f32_e32 v23, v98, v89
	v_fmac_f32_e32 v26, 0x3f5db3d7, v133
	v_fmac_f32_e32 v115, 0.5, v21
	v_add_f32_e32 v21, v130, v98
	v_fmac_f32_e32 v130, -0.5, v23
	v_add_f32_e32 v27, v67, v26
	v_sub_f32_e32 v13, v67, v26
	v_sub_f32_e32 v23, v111, v97
	v_mov_b32_e32 v24, v130
	v_add_f32_e32 v26, v134, v22
	v_fmac_f32_e32 v24, 0x3f5db3d7, v23
	v_fmac_f32_e32 v130, 0xbf5db3d7, v23
	v_add_f32_e32 v23, v94, v134
	v_fmac_f32_e32 v94, -0.5, v26
	v_sub_f32_e32 v26, v136, v110
	v_mov_b32_e32 v139, v94
	v_fmac_f32_e32 v139, 0x3f5db3d7, v26
	v_fmac_f32_e32 v94, 0xbf5db3d7, v26
	v_add_f32_e32 v26, v136, v110
	v_add_f32_e32 v140, v96, v136
	v_fmac_f32_e32 v96, -0.5, v26
	v_add_f32_e32 v23, v23, v22
	v_sub_f32_e32 v22, v134, v22
	v_mov_b32_e32 v134, v96
	v_fmac_f32_e32 v134, 0xbf5db3d7, v22
	v_fmac_f32_e32 v96, 0x3f5db3d7, v22
	v_mul_f32_e32 v26, 0x3f5db3d7, v134
	v_mul_f32_e32 v29, -0.5, v94
	v_add_f32_e32 v21, v21, v89
	v_fmac_f32_e32 v26, 0.5, v139
	v_fmac_f32_e32 v29, 0x3f5db3d7, v96
	v_add_f32_e32 v22, v21, v23
	v_add_f32_e32 v28, v24, v26
	v_sub_f32_e32 v21, v21, v23
	v_add_f32_e32 v23, v130, v29
	v_sub_f32_e32 v24, v24, v26
	v_sub_f32_e32 v26, v130, v29
	v_add_f32_e32 v29, v127, v85
	v_fmac_f32_e32 v127, -0.5, v30
	v_mov_b32_e32 v30, 0x5a0
	v_cndmask_b32_e64 v30, 0, v30, s[0:1]
	v_lshlrev_b32_e32 v31, 2, v131
	v_add3_u32 v130, 0, v30, v31
	s_barrier
	ds_write2_b32 v130, v20, v25 offset1:60
	v_sub_f32_e32 v20, v87, v95
	v_mov_b32_e32 v25, v127
	v_add_f32_e32 v30, v16, v10
	v_fmac_f32_e32 v25, 0x3f5db3d7, v20
	v_fmac_f32_e32 v127, 0xbf5db3d7, v20
	v_add_f32_e32 v20, v4, v16
	v_fmac_f32_e32 v4, -0.5, v30
	v_sub_f32_e32 v30, v17, v93
	v_add_f32_e32 v136, v5, v17
	v_add_f32_e32 v17, v17, v93
	v_fmac_f32_e32 v5, -0.5, v17
	v_add_f32_e32 v17, v20, v10
	v_sub_f32_e32 v10, v16, v10
	v_mov_b32_e32 v141, v5
	v_mov_b32_e32 v131, v4
	v_fmac_f32_e32 v141, 0xbf5db3d7, v10
	v_add_u32_e32 v112, 0x200, v130
	v_fmac_f32_e32 v131, 0x3f5db3d7, v30
	ds_write2_b32 v112, v9, v13 offset0:112 offset1:172
	v_mul_f32_e32 v9, 0x3f5db3d7, v141
	v_fmac_f32_e32 v9, 0.5, v131
	v_add_f32_e32 v13, v25, v9
	v_sub_f32_e32 v9, v25, v9
	v_add_f32_e32 v25, v7, v86
	v_add_f32_e32 v20, v120, v7
	v_fmac_f32_e32 v120, -0.5, v25
	v_fmac_f32_e32 v5, 0x3f5db3d7, v10
	v_add_f32_e32 v10, v29, v88
	ds_write2_b32 v130, v27, v8 offset0:120 offset1:180
	v_sub_f32_e32 v25, v83, v92
	v_mov_b32_e32 v27, v120
	v_add_f32_e32 v29, v14, v11
	v_fmac_f32_e32 v27, 0x3f5db3d7, v25
	v_fmac_f32_e32 v120, 0xbf5db3d7, v25
	v_add_f32_e32 v25, v2, v14
	v_fmac_f32_e32 v2, -0.5, v29
	v_sub_f32_e32 v29, v15, v91
	v_add_f32_e32 v142, v3, v15
	v_add_f32_e32 v15, v15, v91
	v_fmac_f32_e32 v3, -0.5, v15
	v_add_f32_e32 v15, v25, v11
	v_sub_f32_e32 v11, v14, v11
	v_mov_b32_e32 v143, v3
	v_fmac_f32_e32 v143, 0xbf5db3d7, v11
	v_fmac_f32_e32 v3, 0x3f5db3d7, v11
	v_lshlrev_b32_sdwa v11, v116, v129 dst_sel:DWORD dst_unused:UNUSED_PAD src0_sel:DWORD src1_sel:BYTE_0
	v_mul_u32_u24_e32 v14, 0x5a0, v128
	v_add3_u32 v114, 0, v14, v11
	v_fmac_f32_e32 v4, 0xbf5db3d7, v30
	ds_write2_b32 v114, v23, v21 offset0:120 offset1:180
	v_add_f32_e32 v23, v84, v6
	v_mul_f32_e32 v16, -0.5, v4
	v_add_f32_e32 v21, v117, v84
	v_fmac_f32_e32 v117, -0.5, v23
	v_add_u32_e32 v116, 0x200, v114
	v_fmac_f32_e32 v16, 0x3f5db3d7, v5
	ds_write2_b32 v116, v24, v26 offset0:112 offset1:172
	v_sub_f32_e32 v23, v90, v80
	v_mov_b32_e32 v24, v117
	v_add_f32_e32 v26, v18, v12
	v_add_f32_e32 v8, v10, v17
	v_sub_f32_e32 v10, v10, v17
	v_add_f32_e32 v17, v127, v16
	v_sub_f32_e32 v16, v127, v16
	v_mov_b32_e32 v127, v2
	v_fmac_f32_e32 v2, 0xbf5db3d7, v29
	v_fmac_f32_e32 v24, 0x3f5db3d7, v23
	v_fmac_f32_e32 v117, 0xbf5db3d7, v23
	v_add_f32_e32 v23, v81, v18
	v_fmac_f32_e32 v81, -0.5, v26
	v_sub_f32_e32 v26, v19, v1
	v_add_f32_e32 v128, v82, v19
	v_add_f32_e32 v19, v19, v1
	ds_write2_b32 v114, v22, v28 offset1:60
	v_mul_f32_e32 v22, -0.5, v2
	v_fmac_f32_e32 v82, -0.5, v19
	v_fmac_f32_e32 v22, 0x3f5db3d7, v3
	v_add_f32_e32 v19, v23, v12
	v_sub_f32_e32 v12, v18, v12
	v_mov_b32_e32 v129, v82
	v_add_f32_e32 v25, v120, v22
	v_sub_f32_e32 v22, v120, v22
	v_mov_b32_e32 v120, v81
	v_fmac_f32_e32 v81, 0xbf5db3d7, v26
	v_fmac_f32_e32 v129, 0xbf5db3d7, v12
	;; [unrolled: 1-line block ×3, first 2 shown]
	v_add_f32_e32 v12, v21, v6
	v_mul_u32_u24_e32 v18, 0x5a0, v123
	v_lshlrev_b32_e32 v21, 2, v124
	v_add3_u32 v123, 0, v18, v21
	v_add_f32_e32 v18, v12, v19
	v_sub_f32_e32 v12, v12, v19
	v_mul_f32_e32 v19, -0.5, v81
	v_fmac_f32_e32 v19, 0x3f5db3d7, v82
	v_add_u32_e32 v124, 0x200, v123
	v_sub_f32_e32 v132, v150, v151
	v_add_f32_e32 v21, v117, v19
	v_sub_f32_e32 v19, v117, v19
	v_mov_b32_e32 v117, v0
	ds_write2_b32 v123, v17, v10 offset0:120 offset1:180
	ds_write2_b32 v124, v9, v16 offset0:112 offset1:172
	v_mul_u32_u24_e32 v9, 0x5a0, v121
	v_lshlrev_b32_e32 v10, 2, v122
	v_fmac_f32_e32 v127, 0x3f5db3d7, v29
	v_add_f32_e32 v11, v20, v86
	v_mul_f32_e32 v20, 0x3f5db3d7, v143
	v_fmac_f32_e32 v120, 0x3f5db3d7, v26
	ds_write2_b32 v123, v8, v13 offset1:60
	v_mul_f32_e32 v8, 0x3f5db3d7, v129
	v_fmac_f32_e32 v117, 0xbf5db3d7, v132
	v_add3_u32 v121, 0, v9, v10
	v_mul_u32_u24_e32 v9, 0x5a0, v125
	v_lshlrev_b32_e32 v10, 2, v126
	v_fmac_f32_e32 v0, 0x3f5db3d7, v132
	v_mul_f32_e32 v132, -0.5, v133
	v_fmac_f32_e32 v20, 0.5, v127
	v_fmac_f32_e32 v8, 0.5, v120
	v_add3_u32 v125, 0, v9, v10
	v_fmac_f32_e32 v132, 0xbf5db3d7, v137
	v_add_f32_e32 v14, v11, v15
	v_sub_f32_e32 v11, v11, v15
	v_add_f32_e32 v15, v27, v20
	v_sub_f32_e32 v20, v27, v20
	;; [unrolled: 2-line block ×3, first 2 shown]
	v_add_u32_e32 v122, 0x200, v121
	v_add_u32_e32 v126, 0x200, v125
	v_lshl_add_u32 v69, v57, 2, 0
	v_lshl_add_u32 v30, v48, 2, 0
	v_add_f32_e32 v144, v113, v138
	v_sub_f32_e32 v113, v113, v138
	v_add_f32_e32 v133, v0, v132
	ds_write2_b32 v121, v14, v15 offset1:60
	ds_write2_b32 v121, v25, v11 offset0:120 offset1:180
	ds_write2_b32 v122, v20, v22 offset0:112 offset1:172
	ds_write2_b32 v125, v18, v13 offset1:60
	ds_write2_b32 v125, v21, v12 offset0:120 offset1:180
	ds_write2_b32 v126, v8, v19 offset0:112 offset1:172
	s_waitcnt lgkmcnt(0)
	s_barrier
	ds_read_b32 v78, v104
	v_add_u32_e32 v35, 0x1600, v104
	v_add_u32_e32 v67, 0x1e00, v104
	v_lshl_add_u32 v70, v45, 2, 0
	ds_read_b32 v27, v69
	ds_read_b32 v22, v70
	v_add_u32_e32 v31, 0x2200, v104
	v_lshl_add_u32 v34, v40, 2, 0
	v_lshl_add_u32 v68, v51, 2, 0
	;; [unrolled: 1-line block ×4, first 2 shown]
	ds_read_b32 v29, v30
	ds_read_b32 v28, v34
	;; [unrolled: 1-line block ×5, first 2 shown]
	v_lshl_add_u32 v73, v56, 2, 0
	ds_read_b32 v76, v47
	ds_read_b32 v77, v53
	;; [unrolled: 1-line block ×7, first 2 shown]
	ds_read_b32 v79, v104 offset:11136
	ds_read2_b32 v[20:21], v35 offset0:32 offset1:128
	ds_read2_b32 v[18:19], v101 offset0:96 offset1:192
	;; [unrolled: 1-line block ×7, first 2 shown]
	s_waitcnt lgkmcnt(0)
	s_barrier
	v_add_f32_e32 v145, v117, v115
	ds_write2_b32 v130, v133, v113 offset0:120 offset1:180
	v_sub_f32_e32 v113, v117, v115
	v_add_f32_e32 v115, v135, v111
	v_add_f32_e32 v115, v115, v97
	;; [unrolled: 1-line block ×12, first 2 shown]
	v_fmac_f32_e32 v65, -0.5, v80
	v_fmac_f32_e32 v135, -0.5, v97
	;; [unrolled: 1-line block ×4, first 2 shown]
	v_sub_f32_e32 v6, v84, v6
	v_mov_b32_e32 v80, v65
	v_sub_f32_e32 v89, v98, v89
	v_mov_b32_e32 v97, v135
	v_mul_f32_e32 v98, 0xbf5db3d7, v139
	v_mul_f32_e32 v96, -0.5, v96
	v_sub_f32_e32 v85, v85, v88
	v_mov_b32_e32 v87, v119
	v_mul_f32_e32 v88, 0xbf5db3d7, v131
	v_mul_f32_e32 v5, -0.5, v5
	;; [unrolled: 4-line block ×3, first 2 shown]
	v_fmac_f32_e32 v80, 0xbf5db3d7, v6
	v_fmac_f32_e32 v65, 0x3f5db3d7, v6
	v_add_f32_e32 v1, v128, v1
	v_mul_f32_e32 v6, 0xbf5db3d7, v120
	v_mul_f32_e32 v82, -0.5, v82
	v_sub_f32_e32 v0, v0, v132
	v_fmac_f32_e32 v97, 0xbf5db3d7, v89
	v_fmac_f32_e32 v135, 0x3f5db3d7, v89
	v_add_f32_e32 v89, v140, v110
	v_fmac_f32_e32 v98, 0.5, v134
	v_fmac_f32_e32 v96, 0xbf5db3d7, v94
	v_fmac_f32_e32 v87, 0xbf5db3d7, v85
	v_fmac_f32_e32 v119, 0x3f5db3d7, v85
	v_add_f32_e32 v85, v136, v93
	v_fmac_f32_e32 v88, 0.5, v141
	v_fmac_f32_e32 v5, 0xbf5db3d7, v4
	;; [unrolled: 5-line block ×3, first 2 shown]
	v_fmac_f32_e32 v6, 0.5, v129
	v_add_f32_e32 v84, v92, v1
	v_fmac_f32_e32 v82, 0xbf5db3d7, v81
	v_sub_f32_e32 v1, v92, v1
	ds_write2_b32 v130, v144, v145 offset1:60
	v_add_f32_e32 v94, v115, v89
	v_sub_f32_e32 v89, v115, v89
	v_add_f32_e32 v110, v97, v98
	v_sub_f32_e32 v97, v97, v98
	;; [unrolled: 2-line block ×9, first 2 shown]
	v_add_f32_e32 v81, v80, v6
	v_add_f32_e32 v90, v65, v82
	v_sub_f32_e32 v6, v80, v6
	v_sub_f32_e32 v65, v65, v82
	ds_write2_b32 v112, v113, v0 offset0:112 offset1:172
	ds_write2_b32 v114, v94, v110 offset1:60
	ds_write2_b32 v114, v98, v89 offset0:120 offset1:180
	ds_write2_b32 v116, v97, v96 offset0:112 offset1:172
	ds_write2_b32 v123, v4, v93 offset1:60
	ds_write2_b32 v123, v88, v85 offset0:120 offset1:180
	;; [unrolled: 3-line block ×4, first 2 shown]
	ds_write2_b32 v126, v6, v65 offset0:112 offset1:172
	v_lshlrev_b64 v[0:1], 3, v[36:37]
	v_lshlrev_b64 v[2:3], 3, v[54:55]
	v_add_co_u32_e64 v4, s[0:1], s12, v0
	v_addc_co_u32_e64 v5, s[0:1], v109, v1, s[0:1]
	v_lshlrev_b64 v[0:1], 3, v[49:50]
	v_add_u32_e32 v6, 0xffffffb8, v36
	v_add_co_u32_e64 v0, s[0:1], s12, v0
	v_addc_co_u32_e64 v1, s[0:1], v109, v1, s[0:1]
	v_add_co_u32_e64 v2, s[0:1], s12, v2
	v_addc_co_u32_e64 v3, s[0:1], v109, v3, s[0:1]
	s_movk_i32 s0, 0x48
	v_cmp_gt_u32_e64 s[0:1], s0, v36
	v_cndmask_b32_e64 v65, v6, v59, s[0:1]
	v_lshlrev_b64 v[6:7], 3, v[65:66]
	s_waitcnt lgkmcnt(0)
	v_add_co_u32_e64 v86, s[0:1], s12, v6
	s_barrier
	global_load_dwordx2 v[80:81], v[4:5], off offset:2800
	global_load_dwordx2 v[84:85], v[2:3], off offset:2800
	v_addc_co_u32_e64 v87, s[0:1], v109, v7, s[0:1]
	global_load_dwordx2 v[82:83], v[0:1], off offset:2800
	v_add_co_u32_e64 v6, s[0:1], s6, v4
	v_addc_co_u32_e64 v7, s[0:1], 0, v5, s[0:1]
	s_movk_i32 s0, 0x2d83
	global_load_dwordx2 v[88:89], v[4:5], off offset:2992
	global_load_dwordx2 v[90:91], v[4:5], off offset:3760
	v_mul_u32_u24_sdwa v37, v45, s0 dst_sel:DWORD dst_unused:UNUSED_PAD src0_sel:WORD_0 src1_sel:DWORD
	global_load_dwordx2 v[86:87], v[86:87], off offset:2800
	v_lshrrev_b32_e32 v37, 22, v37
	v_mul_u32_u24_sdwa v92, v48, s0 dst_sel:DWORD dst_unused:UNUSED_PAD src0_sel:WORD_0 src1_sel:DWORD
	v_mul_lo_u16_e32 v50, 0x168, v37
	v_lshrrev_b32_e32 v92, 22, v92
	v_sub_u16_e32 v50, v45, v50
	v_mul_lo_u16_e32 v92, 0x168, v92
	v_lshlrev_b32_e32 v55, 3, v50
	v_sub_u16_e32 v98, v48, v92
	v_lshlrev_b32_e32 v110, 3, v98
	global_load_dwordx2 v[92:93], v[6:7], off offset:432
	global_load_dwordx2 v[94:95], v55, s[12:13] offset:2800
	global_load_dwordx2 v[96:97], v110, s[12:13] offset:2800
	v_mul_u32_u24_sdwa v55, v40, s0 dst_sel:DWORD dst_unused:UNUSED_PAD src0_sel:WORD_0 src1_sel:DWORD
	v_mul_u32_u24_sdwa v111, v46, s0 dst_sel:DWORD dst_unused:UNUSED_PAD src0_sel:WORD_0 src1_sel:DWORD
	v_lshrrev_b32_e32 v55, 22, v55
	v_lshrrev_b32_e32 v111, 22, v111
	v_mul_lo_u16_e32 v55, 0x168, v55
	v_mul_lo_u16_e32 v111, 0x168, v111
	v_sub_u16_e32 v55, v40, v55
	v_sub_u16_e32 v128, v46, v111
	v_mul_u32_u24_sdwa v111, v51, s0 dst_sel:DWORD dst_unused:UNUSED_PAD src0_sel:WORD_0 src1_sel:DWORD
	v_lshlrev_b32_e32 v110, 3, v55
	v_lshrrev_b32_e32 v129, 22, v111
	v_lshlrev_b32_e32 v112, 3, v128
	global_load_dwordx2 v[110:111], v110, s[12:13] offset:2800
	v_mul_lo_u16_e32 v113, 0x168, v129
	v_sub_u16_e32 v130, v51, v113
	global_load_dwordx2 v[112:113], v112, s[12:13] offset:2800
	v_mul_u32_u24_sdwa v115, v43, s0 dst_sel:DWORD dst_unused:UNUSED_PAD src0_sel:WORD_0 src1_sel:DWORD
	v_lshrrev_b32_e32 v115, 22, v115
	v_mul_u32_u24_sdwa v118, v52, s0 dst_sel:DWORD dst_unused:UNUSED_PAD src0_sel:WORD_0 src1_sel:DWORD
	v_mul_lo_u16_e32 v115, 0x168, v115
	v_lshrrev_b32_e32 v118, 22, v118
	v_mul_u32_u24_sdwa v120, v56, s0 dst_sel:DWORD dst_unused:UNUSED_PAD src0_sel:WORD_0 src1_sel:DWORD
	v_lshlrev_b32_e32 v114, 3, v130
	v_sub_u16_e32 v131, v43, v115
	global_load_dwordx2 v[114:115], v114, s[12:13] offset:2800
	v_mul_lo_u16_e32 v118, 0x168, v118
	v_lshrrev_b32_e32 v120, 22, v120
	v_lshlrev_b32_e32 v116, 3, v131
	global_load_dwordx2 v[116:117], v116, s[12:13] offset:2800
	v_sub_u16_e32 v132, v52, v118
	v_mul_lo_u16_e32 v120, 0x168, v120
	v_lshlrev_b32_e32 v118, 3, v132
	v_sub_u16_e32 v133, v56, v120
	global_load_dwordx2 v[118:119], v118, s[12:13] offset:2800
	v_lshlrev_b32_e32 v120, 3, v133
	global_load_dwordx2 v[120:121], v120, s[12:13] offset:2800
	ds_read2_b32 v[122:123], v35 offset0:32 offset1:128
	ds_read2_b32 v[124:125], v101 offset0:96 offset1:192
	;; [unrolled: 1-line block ×3, first 2 shown]
	s_movk_i32 s0, 0x47
	v_cmp_lt_u32_e64 s[0:1], s0, v36
	v_lshl_add_u32 v98, v98, 2, 0
	v_lshlrev_b64 v[57:58], 3, v[57:58]
	s_waitcnt vmcnt(14) lgkmcnt(2)
	v_mul_f32_e32 v134, v122, v81
	v_fma_f32 v134, v20, v80, -v134
	v_mul_f32_e32 v135, v20, v81
	v_fmac_f32_e32 v135, v122, v80
	s_waitcnt vmcnt(12)
	v_mul_f32_e32 v20, v123, v83
	v_fma_f32 v122, v21, v82, -v20
	v_mul_f32_e32 v136, v21, v83
	ds_read2_b32 v[20:21], v67 offset0:96 offset1:192
	v_fmac_f32_e32 v136, v123, v82
	s_waitcnt lgkmcnt(2)
	v_mul_f32_e32 v82, v124, v85
	ds_read2_b32 v[80:81], v31 offset0:32 offset1:128
	v_fma_f32 v82, v18, v84, -v82
	v_mul_f32_e32 v18, v18, v85
	s_waitcnt vmcnt(9)
	v_mul_f32_e32 v83, v125, v87
	v_fmac_f32_e32 v18, v124, v84
	v_fma_f32 v83, v19, v86, -v83
	v_mul_f32_e32 v19, v19, v87
	s_waitcnt lgkmcnt(2)
	v_mul_f32_e32 v84, v126, v89
	v_fmac_f32_e32 v19, v125, v86
	v_fma_f32 v84, v16, v88, -v84
	v_mul_f32_e32 v86, v16, v89
	v_mul_f32_e32 v16, v127, v91
	v_fma_f32 v16, v17, v90, -v16
	v_mul_f32_e32 v87, v17, v91
	s_waitcnt vmcnt(8) lgkmcnt(1)
	v_mul_f32_e32 v17, v20, v93
	v_fmac_f32_e32 v86, v126, v88
	v_fma_f32 v17, v14, v92, -v17
	v_mul_f32_e32 v88, v14, v93
	s_waitcnt vmcnt(7)
	v_mul_f32_e32 v14, v21, v95
	v_fmac_f32_e32 v88, v20, v92
	v_fma_f32 v20, v15, v94, -v14
	v_mul_f32_e32 v89, v15, v95
	s_waitcnt vmcnt(6) lgkmcnt(0)
	v_mul_f32_e32 v14, v80, v97
	v_fmac_f32_e32 v89, v21, v94
	v_fma_f32 v21, v12, v96, -v14
	ds_read2_b32 v[14:15], v103 offset0:96 offset1:192
	v_fmac_f32_e32 v87, v127, v90
	v_mul_f32_e32 v90, v12, v97
	s_waitcnt vmcnt(5)
	v_mul_f32_e32 v12, v81, v111
	v_fmac_f32_e32 v90, v80, v96
	v_fma_f32 v80, v13, v110, -v12
	v_mul_f32_e32 v91, v13, v111
	s_waitcnt vmcnt(4) lgkmcnt(0)
	v_mul_f32_e32 v12, v14, v113
	v_fmac_f32_e32 v91, v81, v110
	v_fma_f32 v81, v10, v112, -v12
	ds_read2_b32 v[12:13], v44 offset0:32 offset1:128
	v_mul_f32_e32 v92, v10, v113
	s_waitcnt vmcnt(3)
	v_mul_f32_e32 v10, v15, v115
	v_fmac_f32_e32 v92, v14, v112
	v_fma_f32 v14, v11, v114, -v10
	v_mul_f32_e32 v93, v11, v115
	s_waitcnt vmcnt(2) lgkmcnt(0)
	v_mul_f32_e32 v10, v12, v117
	v_fmac_f32_e32 v93, v15, v114
	v_fma_f32 v11, v8, v116, -v10
	v_mul_f32_e32 v15, v8, v117
	v_fmac_f32_e32 v15, v12, v116
	s_waitcnt vmcnt(1)
	v_mul_f32_e32 v8, v13, v119
	v_fma_f32 v8, v9, v118, -v8
	v_mul_f32_e32 v94, v9, v119
	ds_read_b32 v95, v69
	ds_read_b32 v96, v70
	ds_read_b32 v9, v104 offset:11136
	ds_read_b32 v97, v108
	ds_read_b32 v110, v107
	;; [unrolled: 1-line block ×5, first 2 shown]
	s_waitcnt vmcnt(0)
	v_mul_f32_e32 v113, v79, v121
	s_waitcnt lgkmcnt(5)
	v_mul_f32_e32 v10, v9, v121
	v_fmac_f32_e32 v113, v9, v120
	v_sub_f32_e32 v9, v78, v134
	v_fmac_f32_e32 v94, v13, v118
	v_fma_f32 v13, v79, v120, -v10
	v_fma_f32 v10, v78, 2.0, -v9
	ds_read_b32 v114, v53
	ds_read_b32 v115, v47
	;; [unrolled: 1-line block ×8, first 2 shown]
	s_waitcnt lgkmcnt(0)
	s_barrier
	ds_write_b32 v104, v10
	ds_write_b32 v104, v9 offset:1440
	v_sub_f32_e32 v9, v77, v122
	v_fma_f32 v10, v77, 2.0, -v9
	ds_write_b32 v53, v10
	ds_write_b32 v53, v9 offset:1440
	v_sub_f32_e32 v9, v76, v82
	v_fma_f32 v10, v76, 2.0, -v9
	ds_write_b32 v47, v10
	ds_write_b32 v47, v9 offset:1440
	v_mov_b32_e32 v9, 0xb40
	v_cndmask_b32_e64 v9, 0, v9, s[0:1]
	v_lshlrev_b32_e32 v10, 2, v65
	v_add3_u32 v65, 0, v9, v10
	v_sub_f32_e32 v9, v75, v83
	v_fma_f32 v10, v75, 2.0, -v9
	ds_write_b32 v65, v10
	ds_write_b32 v65, v9 offset:1440
	v_lshl_add_u32 v10, v36, 2, 0
	v_sub_f32_e32 v17, v27, v17
	v_sub_f32_e32 v9, v33, v84
	;; [unrolled: 1-line block ×3, first 2 shown]
	v_fma_f32 v27, v27, 2.0, -v17
	v_add_u32_e32 v123, 0xe00, v10
	v_add_u32_e32 v124, 0x1200, v10
	v_fma_f32 v33, v33, 2.0, -v9
	v_fma_f32 v74, v74, 2.0, -v16
	ds_write2_b32 v123, v27, v9 offset0:40 offset1:208
	ds_write2_b32 v124, v16, v17 offset0:48 offset1:144
	v_mul_u32_u24_e32 v9, 0xb40, v37
	v_lshlrev_b32_e32 v16, 2, v50
	v_add3_u32 v37, 0, v9, v16
	v_sub_f32_e32 v9, v22, v20
	v_sub_f32_e32 v20, v12, v135
	v_add_u32_e32 v122, 0xa00, v10
	v_fma_f32 v16, v22, 2.0, -v9
	v_fma_f32 v50, v12, 2.0, -v20
	v_sub_f32_e32 v12, v29, v21
	ds_write2_b32 v122, v33, v74 offset0:104 offset1:200
	ds_write_b32 v37, v16
	v_fma_f32 v16, v29, 2.0, -v12
	v_sub_f32_e32 v17, v28, v80
	v_fma_f32 v21, v28, 2.0, -v17
	v_sub_f32_e32 v22, v32, v81
	v_sub_f32_e32 v14, v25, v14
	ds_write_b32 v37, v9 offset:1440
	ds_write_b32 v98, v16 offset:5760
	;; [unrolled: 1-line block ×3, first 2 shown]
	v_lshl_add_u32 v125, v55, 2, 0
	v_mul_u32_u24_e32 v9, 0xb40, v129
	v_lshlrev_b32_e32 v12, 2, v130
	v_fma_f32 v27, v32, 2.0, -v22
	v_fma_f32 v25, v25, 2.0, -v14
	v_sub_f32_e32 v11, v24, v11
	v_sub_f32_e32 v8, v23, v8
	;; [unrolled: 1-line block ×3, first 2 shown]
	ds_write_b32 v125, v21 offset:5760
	ds_write_b32 v125, v17 offset:7200
	v_lshl_add_u32 v21, v128, 2, 0
	v_add3_u32 v126, 0, v9, v12
	v_fma_f32 v24, v24, 2.0, -v11
	v_fma_f32 v23, v23, 2.0, -v8
	;; [unrolled: 1-line block ×3, first 2 shown]
	ds_write_b32 v21, v27 offset:5760
	ds_write_b32 v21, v22 offset:7200
	ds_write_b32 v126, v25
	ds_write_b32 v126, v14 offset:1440
	v_lshl_add_u32 v14, v131, 2, 0
	v_lshl_add_u32 v127, v132, 2, 0
	v_lshl_add_u32 v128, v133, 2, 0
	ds_write_b32 v14, v24 offset:8640
	ds_write_b32 v14, v11 offset:10080
	;; [unrolled: 1-line block ×6, first 2 shown]
	s_waitcnt lgkmcnt(0)
	s_barrier
	ds_read_b32 v24, v104
	ds_read_b32 v11, v69
	;; [unrolled: 1-line block ×15, first 2 shown]
	ds_read_b32 v55, v104 offset:11136
	ds_read2_b32 v[74:75], v35 offset0:32 offset1:128
	ds_read2_b32 v[76:77], v101 offset0:96 offset1:192
	;; [unrolled: 1-line block ×7, first 2 shown]
	s_waitcnt lgkmcnt(0)
	s_barrier
	ds_write_b32 v104, v50
	ds_write_b32 v104, v20 offset:1440
	v_sub_f32_e32 v20, v114, v136
	v_fma_f32 v50, v114, 2.0, -v20
	v_sub_f32_e32 v18, v115, v18
	ds_write_b32 v53, v50
	ds_write_b32 v53, v20 offset:1440
	v_fma_f32 v20, v115, 2.0, -v18
	ds_write_b32 v47, v20
	ds_write_b32 v47, v18 offset:1440
	v_sub_f32_e32 v18, v110, v19
	v_fma_f32 v19, v110, 2.0, -v18
	ds_write_b32 v65, v19
	ds_write_b32 v65, v18 offset:1440
	v_sub_f32_e32 v18, v97, v86
	v_sub_f32_e32 v20, v112, v87
	v_fma_f32 v19, v97, 2.0, -v18
	v_fma_f32 v50, v112, 2.0, -v20
	ds_write2_b32 v122, v19, v50 offset0:104 offset1:200
	v_sub_f32_e32 v19, v95, v88
	v_fma_f32 v50, v95, 2.0, -v19
	ds_write2_b32 v123, v50, v18 offset0:40 offset1:208
	v_sub_f32_e32 v18, v96, v89
	v_sub_f32_e32 v87, v117, v91
	v_fma_f32 v50, v96, 2.0, -v18
	v_sub_f32_e32 v65, v116, v90
	v_fma_f32 v88, v117, 2.0, -v87
	v_sub_f32_e32 v89, v111, v92
	v_sub_f32_e32 v91, v118, v93
	;; [unrolled: 1-line block ×5, first 2 shown]
	v_fma_f32 v86, v116, 2.0, -v65
	v_fma_f32 v90, v111, 2.0, -v89
	;; [unrolled: 1-line block ×6, first 2 shown]
	ds_write2_b32 v124, v20, v19 offset0:48 offset1:144
	ds_write_b32 v37, v50
	ds_write_b32 v37, v18 offset:1440
	ds_write_b32 v98, v86 offset:5760
	;; [unrolled: 1-line block ×7, first 2 shown]
	ds_write_b32 v126, v92
	ds_write_b32 v126, v91 offset:1440
	ds_write_b32 v14, v93 offset:8640
	;; [unrolled: 1-line block ×7, first 2 shown]
	v_add_co_u32_e64 v88, s[0:1], s6, v0
	v_addc_co_u32_e64 v89, s[0:1], 0, v1, s[0:1]
	v_add_co_u32_e64 v90, s[0:1], s6, v2
	v_lshlrev_b64 v[14:15], 3, v[59:60]
	v_addc_co_u32_e64 v91, s[0:1], 0, v3, s[0:1]
	v_add_co_u32_e64 v18, s[0:1], s12, v14
	v_addc_co_u32_e64 v19, s[0:1], v109, v15, s[0:1]
	v_add_co_u32_e64 v59, s[0:1], s6, v18
	v_lshlrev_b64 v[14:15], 3, v[61:62]
	v_addc_co_u32_e64 v60, s[0:1], 0, v19, s[0:1]
	v_add_co_u32_e64 v14, s[0:1], s12, v14
	v_addc_co_u32_e64 v20, s[0:1], v109, v15, s[0:1]
	v_add_co_u32_e64 v61, s[0:1], s6, v14
	s_waitcnt lgkmcnt(0)
	s_barrier
	global_load_dwordx2 v[86:87], v[6:7], off offset:1584
	v_addc_co_u32_e64 v62, s[0:1], 0, v20, s[0:1]
	global_load_dwordx2 v[92:93], v[88:89], off offset:1584
	global_load_dwordx2 v[94:95], v[90:91], off offset:1584
	;; [unrolled: 1-line block ×4, first 2 shown]
	v_lshlrev_b64 v[59:60], 3, v[63:64]
	v_add_u32_e32 v112, 0x210, v36
	v_add_co_u32_e64 v15, s[0:1], s12, v59
	v_addc_co_u32_e64 v21, s[0:1], v109, v60, s[0:1]
	v_add_co_u32_e64 v59, s[0:1], s6, v15
	v_addc_co_u32_e64 v60, s[0:1], 0, v21, s[0:1]
	;; [unrolled: 2-line block ×4, first 2 shown]
	global_load_dwordx2 v[61:62], v[59:60], off offset:1584
	global_load_dwordx2 v[63:64], v[57:58], off offset:1584
	v_subrev_u32_e32 v57, 48, v36
	v_cmp_gt_u32_e64 s[0:1], 48, v36
	v_cndmask_b32_e64 v65, v57, v45, s[0:1]
	v_lshlrev_b64 v[57:58], 3, v[65:66]
	v_mov_b32_e32 v113, v66
	v_add_co_u32_e64 v57, s[0:1], s12, v57
	v_addc_co_u32_e64 v58, s[0:1], v109, v58, s[0:1]
	v_add_co_u32_e64 v57, s[0:1], s6, v57
	v_addc_co_u32_e64 v58, s[0:1], 0, v58, s[0:1]
	global_load_dwordx2 v[59:60], v[57:58], off offset:1584
	global_load_dwordx2 v[88:89], v[6:7], off offset:1968
	;; [unrolled: 1-line block ×3, first 2 shown]
	v_add_co_u32_e64 v4, s[0:1], s7, v4
	v_lshlrev_b64 v[112:113], 3, v[112:113]
	global_load_dwordx2 v[6:7], v[6:7], off offset:3504
	v_addc_co_u32_e64 v5, s[0:1], 0, v5, s[0:1]
	v_add_co_u32_e64 v98, s[0:1], s12, v112
	global_load_dwordx2 v[57:58], v[4:5], off offset:176
	v_addc_co_u32_e64 v117, s[0:1], v109, v113, s[0:1]
	v_add_u32_e32 v112, 0x270, v36
	v_mov_b32_e32 v113, v66
	v_lshlrev_b64 v[112:113], 3, v[112:113]
	v_add_co_u32_e64 v116, s[0:1], s6, v98
	v_addc_co_u32_e64 v117, s[0:1], 0, v117, s[0:1]
	v_add_co_u32_e64 v98, s[0:1], s12, v112
	v_addc_co_u32_e64 v109, s[0:1], v109, v113, s[0:1]
	;; [unrolled: 2-line block ×3, first 2 shown]
	global_load_dwordx2 v[116:117], v[116:117], off offset:1584
	v_cmp_lt_u32_e64 s[0:1], 47, v36
	global_load_dwordx2 v[112:113], v[112:113], off offset:1584
	s_nop 0
	global_load_dwordx2 v[114:115], v[4:5], off offset:944
	ds_read2_b32 v[118:119], v35 offset0:32 offset1:128
	ds_read2_b32 v[120:121], v101 offset0:96 offset1:192
	ds_read_b32 v109, v104
	s_waitcnt vmcnt(14) lgkmcnt(2)
	v_mul_f32_e32 v98, v118, v87
	v_fma_f32 v98, v74, v86, -v98
	v_mul_f32_e32 v87, v74, v87
	s_waitcnt vmcnt(13)
	v_mul_f32_e32 v74, v119, v93
	v_fmac_f32_e32 v87, v118, v86
	v_fma_f32 v86, v75, v92, -v74
	v_mul_f32_e32 v93, v75, v93
	s_waitcnt vmcnt(12) lgkmcnt(1)
	v_mul_f32_e32 v74, v120, v95
	v_fmac_f32_e32 v93, v119, v92
	v_fma_f32 v92, v76, v94, -v74
	ds_read2_b32 v[74:75], v102 offset0:32 offset1:128
	v_mul_f32_e32 v95, v76, v95
	s_waitcnt vmcnt(11)
	v_mul_f32_e32 v76, v121, v97
	v_fmac_f32_e32 v95, v120, v94
	v_fma_f32 v94, v77, v96, -v76
	v_mul_f32_e32 v97, v77, v97
	s_waitcnt vmcnt(10) lgkmcnt(0)
	v_mul_f32_e32 v76, v74, v111
	v_fmac_f32_e32 v97, v121, v96
	v_fma_f32 v96, v78, v110, -v76
	ds_read2_b32 v[76:77], v67 offset0:96 offset1:192
	v_mul_f32_e32 v78, v78, v111
	v_fmac_f32_e32 v78, v74, v110
	s_waitcnt vmcnt(9)
	v_mul_f32_e32 v74, v75, v62
	v_fma_f32 v74, v79, v61, -v74
	v_mul_f32_e32 v79, v79, v62
	v_fmac_f32_e32 v79, v75, v61
	s_waitcnt vmcnt(8) lgkmcnt(0)
	v_mul_f32_e32 v61, v76, v64
	v_fma_f32 v75, v80, v63, -v61
	v_mul_f32_e32 v80, v80, v64
	v_fmac_f32_e32 v80, v76, v63
	ds_read2_b32 v[61:62], v31 offset0:32 offset1:128
	v_sub_f32_e32 v74, v29, v74
	v_sub_f32_e32 v75, v11, v75
	v_fma_f32 v29, v29, 2.0, -v74
	s_waitcnt vmcnt(7)
	v_mul_f32_e32 v63, v77, v60
	v_fma_f32 v63, v81, v59, -v63
	v_mul_f32_e32 v81, v81, v60
	v_fmac_f32_e32 v81, v77, v59
	ds_read2_b32 v[59:60], v103 offset0:96 offset1:192
	s_waitcnt vmcnt(6) lgkmcnt(1)
	v_mul_f32_e32 v64, v61, v89
	v_fma_f32 v64, v82, v88, -v64
	v_mul_f32_e32 v82, v82, v89
	v_fmac_f32_e32 v82, v61, v88
	s_waitcnt vmcnt(4) lgkmcnt(0)
	v_mul_f32_e32 v77, v59, v7
	v_fma_f32 v77, v84, v6, -v77
	v_mul_f32_e32 v84, v84, v7
	v_mul_f32_e32 v61, v62, v91
	v_fmac_f32_e32 v84, v59, v6
	s_waitcnt vmcnt(3)
	v_mul_f32_e32 v6, v60, v58
	v_fma_f32 v76, v83, v90, -v61
	v_mul_f32_e32 v83, v83, v91
	v_fma_f32 v6, v85, v57, -v6
	v_mul_f32_e32 v85, v85, v58
	ds_read_b32 v88, v69
	ds_read_b32 v89, v70
	v_fmac_f32_e32 v83, v62, v90
	ds_read2_b32 v[61:62], v44 offset0:32 offset1:128
	v_fmac_f32_e32 v85, v60, v57
	ds_read_b32 v57, v108
	ds_read_b32 v90, v107
	;; [unrolled: 1-line block ×4, first 2 shown]
	ds_read_b32 v7, v104 offset:11136
	v_fma_f32 v11, v11, 2.0, -v75
	v_sub_f32_e32 v87, v109, v87
	v_sub_f32_e32 v63, v12, v63
	v_sub_f32_e32 v64, v25, v64
	v_sub_f32_e32 v76, v23, v76
	s_waitcnt vmcnt(2) lgkmcnt(5)
	v_mul_f32_e32 v59, v62, v117
	v_fma_f32 v59, v9, v116, -v59
	s_waitcnt vmcnt(1) lgkmcnt(0)
	v_mul_f32_e32 v60, v7, v113
	v_mul_f32_e32 v113, v55, v113
	s_waitcnt vmcnt(0)
	v_mul_f32_e32 v58, v61, v115
	v_fma_f32 v58, v8, v114, -v58
	v_mul_f32_e32 v8, v8, v115
	v_mul_f32_e32 v9, v9, v117
	v_fmac_f32_e32 v113, v7, v112
	v_sub_f32_e32 v7, v24, v98
	v_fmac_f32_e32 v8, v61, v114
	v_fmac_f32_e32 v9, v62, v116
	v_fma_f32 v60, v55, v112, -v60
	v_fma_f32 v24, v24, 2.0, -v7
	v_sub_f32_e32 v55, v33, v86
	v_sub_f32_e32 v61, v28, v92
	;; [unrolled: 1-line block ×4, first 2 shown]
	ds_read_b32 v111, v30
	ds_read_b32 v114, v34
	;; [unrolled: 1-line block ×8, first 2 shown]
	v_fma_f32 v33, v33, 2.0, -v55
	v_fma_f32 v28, v28, 2.0, -v61
	;; [unrolled: 1-line block ×4, first 2 shown]
	s_waitcnt lgkmcnt(0)
	s_barrier
	ds_write_b32 v104, v24
	ds_write_b32 v104, v7 offset:2880
	ds_write_b32 v53, v33
	ds_write_b32 v53, v55 offset:2880
	;; [unrolled: 2-line block ×7, first 2 shown]
	v_mov_b32_e32 v7, 0x1680
	v_sub_f32_e32 v77, v26, v77
	v_sub_f32_e32 v6, v17, v6
	;; [unrolled: 1-line block ×5, first 2 shown]
	v_cndmask_b32_e64 v7, 0, v7, s[0:1]
	v_lshlrev_b32_e32 v11, 2, v65
	v_fma_f32 v98, v109, 2.0, -v87
	v_fma_f32 v12, v12, 2.0, -v63
	;; [unrolled: 1-line block ×9, first 2 shown]
	v_add3_u32 v11, 0, v7, v11
	v_add_u32_e32 v86, 0x1600, v10
	v_add_u32_e32 v92, 0x2400, v10
	;; [unrolled: 1-line block ×7, first 2 shown]
	ds_write_b32 v11, v12
	ds_write_b32 v11, v63 offset:2880
	ds_write2_b32 v86, v25, v23 offset0:80 offset1:176
	ds_write2_b32 v92, v76, v77 offset1:96
	ds_write2_b32 v94, v26, v17 offset0:144 offset1:240
	ds_write2_b32 v96, v6, v58 offset0:64 offset1:160
	ds_write2_b32 v109, v13, v16 offset0:80 offset1:176
	ds_write2_b32 v120, v22, v64 offset0:16 offset1:160
	ds_write2_b32 v121, v59, v60 offset0:128 offset1:224
	s_waitcnt lgkmcnt(0)
	s_barrier
	ds_read_b32 v55, v104
	ds_read2_b32 v[16:17], v35 offset0:32 offset1:128
	ds_read2_b32 v[22:23], v101 offset0:96 offset1:192
	;; [unrolled: 1-line block ×4, first 2 shown]
	ds_read_b32 v62, v69
	ds_read_b32 v63, v70
	;; [unrolled: 1-line block ×14, first 2 shown]
	ds_read_b32 v7, v104 offset:11136
	ds_read2_b32 v[32:33], v31 offset0:32 offset1:128
	ds_read2_b32 v[28:29], v103 offset0:96 offset1:192
	;; [unrolled: 1-line block ×3, first 2 shown]
	s_waitcnt lgkmcnt(0)
	s_barrier
	ds_write_b32 v104, v98
	ds_write_b32 v104, v87 offset:2880
	v_sub_f32_e32 v87, v118, v93
	v_fma_f32 v93, v118, 2.0, -v87
	ds_write_b32 v53, v93
	ds_write_b32 v53, v87 offset:2880
	v_sub_f32_e32 v53, v112, v95
	v_fma_f32 v87, v112, 2.0, -v53
	ds_write_b32 v47, v87
	s_movk_i32 s0, 0xb40
	v_sub_f32_e32 v87, v90, v97
	v_sub_f32_e32 v78, v57, v78
	;; [unrolled: 1-line block ×12, first 2 shown]
	v_fma_f32 v90, v90, 2.0, -v87
	v_fma_f32 v57, v57, 2.0, -v78
	;; [unrolled: 1-line block ×12, first 2 shown]
	ds_write_b32 v47, v53 offset:2880
	ds_write_b32 v107, v90
	ds_write_b32 v107, v87 offset:2880
	ds_write_b32 v108, v57
	;; [unrolled: 2-line block ×5, first 2 shown]
	ds_write_b32 v11, v81 offset:2880
	ds_write2_b32 v86, v95, v97 offset0:80 offset1:176
	ds_write2_b32 v92, v83, v84 offset1:96
	ds_write2_b32 v94, v91, v98 offset0:144 offset1:240
	ds_write2_b32 v96, v85, v8 offset0:64 offset1:160
	ds_write2_b32 v109, v110, v111 offset0:80 offset1:176
	ds_write2_b32 v120, v113, v82 offset0:16 offset1:160
	ds_write2_b32 v121, v9, v112 offset0:128 offset1:224
	s_waitcnt lgkmcnt(0)
	s_barrier
	s_and_saveexec_b64 s[8:9], vcc
	s_cbranch_execz .LBB0_15
; %bb.14:
	v_mov_b32_e32 v57, v66
	v_lshlrev_b64 v[8:9], 3, v[56:57]
	v_mov_b32_e32 v80, s13
	v_add_co_u32_e32 v8, vcc, s12, v8
	v_addc_co_u32_e32 v9, vcc, v80, v9, vcc
	v_add_co_u32_e32 v8, vcc, s7, v8
	v_addc_co_u32_e32 v9, vcc, 0, v9, vcc
	global_load_dwordx2 v[8:9], v[8:9], off offset:3248
	v_mov_b32_e32 v53, v66
	v_lshlrev_b64 v[52:53], 3, v[52:53]
	v_mul_i32_i24_e32 v84, 0xffffffdc, v49
	v_add_co_u32_e32 v11, vcc, s12, v52
	v_addc_co_u32_e32 v47, vcc, v80, v53, vcc
	v_add_co_u32_e32 v52, vcc, s7, v11
	v_addc_co_u32_e32 v53, vcc, 0, v47, vcc
	global_load_dwordx2 v[56:57], v[52:53], off offset:3248
	ds_read2_b32 v[78:79], v44 offset0:32 offset1:128
	ds_read_b32 v73, v73
	ds_read_b32 v81, v72
	;; [unrolled: 1-line block ×3, first 2 shown]
	v_mov_b32_e32 v44, v66
	v_mul_i32_i24_e32 v85, 0xffffffdc, v54
	v_mul_lo_u32 v11, s5, v41
	v_mul_lo_u32 v49, s4, v42
	v_mad_u64_u32 v[53:54], s[4:5], s4, v41, 0
	v_lshlrev_b64 v[41:42], 3, v[43:44]
	ds_read_b32 v86, v70
	ds_read_b32 v87, v69
	;; [unrolled: 1-line block ×4, first 2 shown]
	v_add_co_u32_e32 v41, vcc, s12, v41
	v_addc_co_u32_e32 v42, vcc, v80, v42, vcc
	v_add_co_u32_e32 v41, vcc, s7, v41
	v_addc_co_u32_e32 v42, vcc, 0, v42, vcc
	global_load_dwordx2 v[42:43], v[41:42], off offset:3248
	v_mov_b32_e32 v52, v66
	v_lshlrev_b64 v[51:52], 3, v[51:52]
	v_mov_b32_e32 v47, v66
	v_lshlrev_b64 v[46:47], 3, v[46:47]
	v_add_co_u32_e32 v44, vcc, s12, v51
	v_addc_co_u32_e32 v51, vcc, v80, v52, vcc
	v_add_co_u32_e32 v69, vcc, s12, v46
	v_addc_co_u32_e32 v70, vcc, v80, v47, vcc
	;; [unrolled: 2-line block ×3, first 2 shown]
	ds_read_b32 v90, v106
	ds_read_b32 v91, v105
	ds_read_b32 v41, v104 offset:11136
	ds_read_b32 v92, v104
	global_load_dwordx2 v[51:52], v[46:47], off offset:3248
	v_add_co_u32_e32 v46, vcc, s7, v69
	v_addc_co_u32_e32 v47, vcc, 0, v70, vcc
	global_load_dwordx2 v[69:70], v[46:47], off offset:3248
	global_load_dwordx2 v[71:72], v[4:5], off offset:3248
	v_add3_u32 v54, v54, v49, v11
	v_mov_b32_e32 v49, v66
	v_lshlrev_b64 v[46:47], 3, v[48:49]
	s_mov_b32 s1, 0x5b05b06
	v_lshlrev_b64 v[53:54], 3, v[53:54]
	ds_read_b32 v34, v34
	s_waitcnt vmcnt(5) lgkmcnt(2)
	v_mul_f32_e32 v4, v8, v41
	v_mul_f32_e32 v5, v9, v41
	v_mov_b32_e32 v41, v66
	v_lshlrev_b64 v[40:41], 3, v[40:41]
	v_fmac_f32_e32 v4, v7, v9
	v_fma_f32 v7, v7, v8, -v5
	v_add_co_u32_e32 v8, vcc, s12, v40
	v_addc_co_u32_e32 v41, vcc, v80, v41, vcc
	v_add_co_u32_e32 v40, vcc, s7, v8
	v_addc_co_u32_e32 v41, vcc, 0, v41, vcc
	;; [unrolled: 2-line block ×3, first 2 shown]
	v_add_co_u32_e32 v46, vcc, s7, v8
	global_load_dwordx2 v[40:41], v[40:41], off offset:3248
	v_addc_co_u32_e32 v47, vcc, 0, v44, vcc
	global_load_dwordx2 v[47:48], v[46:47], off offset:3248
	v_mov_b32_e32 v46, v66
	v_lshlrev_b64 v[44:45], 3, v[45:46]
	s_waitcnt vmcnt(6)
	v_mul_f32_e32 v11, v56, v79
	v_add_co_u32_e32 v8, vcc, s12, v44
	v_addc_co_u32_e32 v45, vcc, v80, v45, vcc
	v_add_co_u32_e32 v44, vcc, s7, v8
	v_addc_co_u32_e32 v45, vcc, 0, v45, vcc
	global_load_dwordx2 v[44:45], v[44:45], off offset:3248
	v_add_co_u32_e32 v49, vcc, s7, v37
	v_addc_co_u32_e32 v50, vcc, 0, v50, vcc
	global_load_dwordx2 v[49:50], v[49:50], off offset:3248
	v_mul_f32_e32 v79, v57, v79
	v_fma_f32 v8, v13, v56, -v79
	v_add_co_u32_e32 v56, vcc, s7, v15
	v_fmac_f32_e32 v11, v13, v57
	v_addc_co_u32_e32 v57, vcc, 0, v21, vcc
	global_load_dwordx2 v[56:57], v[56:57], off offset:3248
	v_sub_f32_e32 v9, v81, v11
	v_add_co_u32_e32 v80, vcc, s7, v14
	v_fma_f32 v11, v81, 2.0, -v9
	v_addc_co_u32_e32 v81, vcc, 0, v20, vcc
	global_load_dwordx2 v[80:81], v[80:81], off offset:3248
	v_add_co_u32_e32 v18, vcc, s7, v18
	s_waitcnt vmcnt(9)
	v_mul_f32_e32 v13, v42, v78
	v_mul_f32_e32 v21, v43, v78
	v_addc_co_u32_e32 v19, vcc, 0, v19, vcc
	v_fmac_f32_e32 v13, v12, v43
	v_fma_f32 v12, v12, v42, -v21
	global_load_dwordx2 v[42:43], v[18:19], off offset:3248
	v_add_co_u32_e32 v2, vcc, s7, v2
	v_sub_f32_e32 v13, v82, v13
	v_addc_co_u32_e32 v3, vcc, 0, v3, vcc
	v_fma_f32 v15, v82, 2.0, -v13
	global_load_dwordx2 v[82:83], v[2:3], off offset:3248
	ds_read2_b32 v[78:79], v103 offset0:96 offset1:192
	v_add_co_u32_e32 v0, vcc, s7, v0
	v_addc_co_u32_e32 v1, vcc, 0, v1, vcc
	s_waitcnt vmcnt(10) lgkmcnt(0)
	v_mul_f32_e32 v20, v51, v79
	v_mul_f32_e32 v18, v52, v79
	v_fmac_f32_e32 v20, v29, v52
	v_fma_f32 v2, v29, v51, -v18
	global_load_dwordx2 v[51:52], v[0:1], off offset:3248
	ds_read_b32 v37, v68
	v_sub_f32_e32 v12, v77, v12
	v_sub_f32_e32 v18, v76, v2
	v_fma_f32 v14, v77, 2.0, -v12
	s_waitcnt vmcnt(10)
	v_mul_f32_e32 v0, v70, v78
	s_waitcnt lgkmcnt(0)
	v_sub_f32_e32 v19, v37, v20
	v_fma_f32 v20, v76, 2.0, -v18
	ds_read2_b32 v[76:77], v31 offset0:32 offset1:128
	v_fma_f32 v0, v28, v69, -v0
	v_sub_f32_e32 v1, v75, v0
	ds_read_b32 v3, v30
	ds_read2_b32 v[67:68], v67 offset0:96 offset1:192
	v_mul_f32_e32 v2, v69, v78
	v_sub_f32_e32 v5, v73, v4
	v_sub_f32_e32 v4, v6, v7
	v_fma_f32 v7, v73, 2.0, -v5
	v_fmac_f32_e32 v2, v28, v70
	v_fma_f32 v28, v75, 2.0, -v1
	s_waitcnt vmcnt(8) lgkmcnt(2)
	v_mul_f32_e32 v0, v40, v77
	v_fmac_f32_e32 v0, v33, v41
	v_sub_f32_e32 v31, v34, v0
	v_mul_f32_e32 v0, v41, v77
	v_fma_f32 v0, v33, v40, -v0
	v_sub_f32_e32 v30, v74, v0
	s_waitcnt vmcnt(7)
	v_mul_f32_e32 v0, v47, v76
	v_fmac_f32_e32 v0, v32, v48
	s_waitcnt lgkmcnt(1)
	v_sub_f32_e32 v41, v3, v0
	v_mul_f32_e32 v0, v48, v76
	v_fma_f32 v0, v32, v47, -v0
	v_sub_f32_e32 v40, v65, v0
	v_fma_f32 v33, v74, 2.0, -v30
	ds_read2_b32 v[73:74], v101 offset0:96 offset1:192
	v_fma_f32 v66, v3, 2.0, -v41
	s_waitcnt vmcnt(6) lgkmcnt(1)
	v_mul_f32_e32 v0, v44, v68
	v_fmac_f32_e32 v0, v27, v45
	v_sub_f32_e32 v46, v86, v0
	v_mul_f32_e32 v0, v45, v68
	v_fma_f32 v0, v27, v44, -v0
	ds_read2_b32 v[68:69], v102 offset0:32 offset1:128
	v_sub_f32_e32 v45, v63, v0
	s_waitcnt vmcnt(5)
	v_mul_f32_e32 v0, v49, v67
	v_fmac_f32_e32 v0, v26, v50
	v_sub_f32_e32 v27, v87, v0
	v_mul_f32_e32 v0, v50, v67
	v_fma_f32 v0, v26, v49, -v0
	v_sub_f32_e32 v26, v62, v0
	s_waitcnt vmcnt(4) lgkmcnt(0)
	v_mul_f32_e32 v0, v56, v69
	v_fmac_f32_e32 v0, v25, v57
	v_sub_f32_e32 v50, v91, v0
	v_mul_f32_e32 v0, v57, v69
	v_fma_f32 v0, v25, v56, -v0
	v_sub_f32_e32 v49, v64, v0
	v_add_u32_e32 v3, v100, v85
	s_waitcnt vmcnt(3)
	v_mul_f32_e32 v0, v80, v68
	v_fmac_f32_e32 v0, v24, v81
	v_sub_f32_e32 v25, v88, v0
	v_mul_f32_e32 v0, v81, v68
	v_fma_f32 v0, v24, v80, -v0
	v_sub_f32_e32 v24, v61, v0
	ds_read_b32 v3, v3
	v_fma_f32 v21, v37, 2.0, -v19
	v_lshlrev_b64 v[37:38], 3, v[38:39]
	s_waitcnt vmcnt(2)
	v_mul_f32_e32 v0, v42, v74
	v_fmac_f32_e32 v0, v23, v43
	v_sub_f32_e32 v44, v89, v0
	v_mul_f32_e32 v0, v43, v74
	v_fma_f32 v0, v23, v42, -v0
	v_sub_f32_e32 v43, v60, v0
	v_add_u32_e32 v39, 0x60, v36
	s_waitcnt vmcnt(1)
	v_mul_f32_e32 v0, v82, v73
	v_fmac_f32_e32 v0, v22, v83
	s_waitcnt lgkmcnt(0)
	v_sub_f32_e32 v23, v3, v0
	v_mul_f32_e32 v0, v83, v73
	ds_read2_b32 v[73:74], v35 offset0:32 offset1:128
	v_fma_f32 v68, v3, 2.0, -v23
	v_add_u32_e32 v3, v99, v84
	ds_read_b32 v3, v3
	v_fma_f32 v0, v22, v82, -v0
	v_sub_f32_e32 v22, v59, v0
	s_waitcnt vmcnt(0) lgkmcnt(1)
	v_mul_f32_e32 v0, v51, v74
	v_fmac_f32_e32 v0, v17, v52
	s_waitcnt lgkmcnt(0)
	v_sub_f32_e32 v75, v3, v0
	v_mul_f32_e32 v0, v52, v74
	v_fma_f32 v0, v17, v51, -v0
	v_sub_f32_e32 v74, v58, v0
	v_lshrrev_b32_e32 v0, 5, v36
	v_mul_hi_u32 v0, v0, s1
	v_fma_f32 v67, v59, 2.0, -v22
	v_fma_f32 v59, v3, 2.0, -v75
	v_mul_f32_e32 v3, v71, v73
	v_mul_u32_u24_e32 v0, 0x5a0, v0
	v_sub_u32_e32 v32, v36, v0
	v_mad_u64_u32 v[51:52], s[4:5], s2, v32, 0
	v_fmac_f32_e32 v3, v16, v72
	v_sub_f32_e32 v17, v92, v3
	v_mul_f32_e32 v3, v72, v73
	v_mov_b32_e32 v0, v52
	v_mad_u64_u32 v[72:73], s[4:5], s3, v32, v[0:1]
	v_fma_f32 v0, v16, v71, -v3
	v_sub_f32_e32 v16, v55, v0
	v_mov_b32_e32 v0, s11
	v_add_co_u32_e32 v3, vcc, s10, v53
	v_addc_co_u32_e32 v35, vcc, v0, v54, vcc
	v_add_co_u32_e32 v0, vcc, v3, v37
	v_mov_b32_e32 v52, v72
	v_addc_co_u32_e32 v3, vcc, v35, v38, vcc
	v_add_u32_e32 v35, 0x5a0, v32
	v_lshlrev_b64 v[37:38], 3, v[51:52]
	v_mad_u64_u32 v[51:52], s[4:5], s2, v35, 0
	v_lshrrev_b32_e32 v32, 5, v39
	v_mul_hi_u32 v42, v32, s1
	v_mov_b32_e32 v32, v52
	v_mad_u64_u32 v[52:53], s[4:5], s3, v35, v[32:33]
	v_mul_u32_u24_e32 v32, 0x5a0, v42
	v_sub_u32_e32 v32, v39, v32
	v_mad_u32_u24 v35, v42, s0, v32
	v_mad_u64_u32 v[53:54], s[4:5], s2, v35, 0
	v_add_co_u32_e32 v37, vcc, v0, v37
	v_fma_f32 v77, v92, 2.0, -v17
	v_fma_f32 v76, v55, 2.0, -v16
	v_addc_co_u32_e32 v38, vcc, v3, v38, vcc
	global_store_dwordx2 v[37:38], v[76:77], off
	v_lshlrev_b64 v[37:38], 3, v[51:52]
	v_mov_b32_e32 v32, v54
	v_mad_u64_u32 v[51:52], s[4:5], s3, v35, v[32:33]
	v_add_co_u32_e32 v37, vcc, v0, v37
	v_addc_co_u32_e32 v38, vcc, v3, v38, vcc
	v_add_u32_e32 v35, 0x5a0, v35
	v_add_u32_e32 v42, 0xc0, v36
	global_store_dwordx2 v[37:38], v[16:17], off
	v_mad_u64_u32 v[37:38], s[4:5], s2, v35, 0
	v_lshrrev_b32_e32 v32, 5, v42
	v_mov_b32_e32 v54, v51
	v_mul_hi_u32 v51, v32, s1
	v_mov_b32_e32 v32, v38
	v_mad_u64_u32 v[38:39], s[4:5], s3, v35, v[32:33]
	v_mul_u32_u24_e32 v32, 0x5a0, v51
	v_sub_u32_e32 v32, v42, v32
	v_mad_u32_u24 v35, v51, s0, v32
	v_mad_u64_u32 v[51:52], s[4:5], s2, v35, 0
	v_lshlrev_b64 v[16:17], 3, v[53:54]
	v_fma_f32 v58, v58, 2.0, -v74
	v_add_co_u32_e32 v16, vcc, v0, v16
	v_addc_co_u32_e32 v17, vcc, v3, v17, vcc
	v_mov_b32_e32 v32, v52
	global_store_dwordx2 v[16:17], v[58:59], off
	v_lshlrev_b64 v[16:17], 3, v[37:38]
	v_mad_u64_u32 v[37:38], s[4:5], s3, v35, v[32:33]
	v_add_co_u32_e32 v16, vcc, v0, v16
	v_add_u32_e32 v35, 0x5a0, v35
	v_add_u32_e32 v42, 0x120, v36
	v_addc_co_u32_e32 v17, vcc, v3, v17, vcc
	v_mov_b32_e32 v52, v37
	v_mad_u64_u32 v[37:38], s[4:5], s2, v35, 0
	v_lshrrev_b32_e32 v32, 5, v42
	global_store_dwordx2 v[16:17], v[74:75], off
	v_lshlrev_b64 v[16:17], 3, v[51:52]
	v_mul_hi_u32 v51, v32, s1
	v_mov_b32_e32 v32, v38
	v_mad_u64_u32 v[38:39], s[4:5], s3, v35, v[32:33]
	v_mul_u32_u24_e32 v32, 0x5a0, v51
	v_sub_u32_e32 v32, v42, v32
	v_mad_u32_u24 v35, v51, s0, v32
	v_mad_u64_u32 v[51:52], s[4:5], s2, v35, 0
	v_add_co_u32_e32 v16, vcc, v0, v16
	v_addc_co_u32_e32 v17, vcc, v3, v17, vcc
	v_mov_b32_e32 v32, v52
	global_store_dwordx2 v[16:17], v[67:68], off
	v_lshlrev_b64 v[16:17], 3, v[37:38]
	v_mad_u64_u32 v[37:38], s[4:5], s3, v35, v[32:33]
	v_add_co_u32_e32 v16, vcc, v0, v16
	v_add_u32_e32 v32, 0x5a0, v35
	v_add_u32_e32 v35, 0x180, v36
	v_addc_co_u32_e32 v17, vcc, v3, v17, vcc
	v_mov_b32_e32 v52, v37
	v_lshrrev_b32_e32 v37, 5, v35
	global_store_dwordx2 v[16:17], v[22:23], off
	v_mad_u64_u32 v[22:23], s[4:5], s2, v32, 0
	v_mul_hi_u32 v39, v37, s1
	v_lshlrev_b64 v[16:17], 3, v[51:52]
	v_mad_u64_u32 v[37:38], s[4:5], s3, v32, v[23:24]
	v_mul_u32_u24_e32 v23, 0x5a0, v39
	v_sub_u32_e32 v23, v35, v23
	v_mad_u32_u24 v32, v39, s0, v23
	v_mad_u64_u32 v[38:39], s[4:5], s2, v32, 0
	v_add_co_u32_e32 v16, vcc, v0, v16
	v_fma_f32 v56, v61, 2.0, -v24
	v_fma_f32 v61, v89, 2.0, -v44
	;; [unrolled: 1-line block ×3, first 2 shown]
	v_addc_co_u32_e32 v17, vcc, v3, v17, vcc
	v_mov_b32_e32 v23, v37
	global_store_dwordx2 v[16:17], v[60:61], off
	v_lshlrev_b64 v[16:17], 3, v[22:23]
	v_mov_b32_e32 v22, v39
	v_mad_u64_u32 v[22:23], s[4:5], s3, v32, v[22:23]
	v_add_co_u32_e32 v16, vcc, v0, v16
	v_add_u32_e32 v35, 0x1e0, v36
	v_addc_co_u32_e32 v17, vcc, v3, v17, vcc
	v_mov_b32_e32 v39, v22
	v_add_u32_e32 v32, 0x5a0, v32
	v_lshrrev_b32_e32 v37, 5, v35
	global_store_dwordx2 v[16:17], v[43:44], off
	v_lshlrev_b64 v[16:17], 3, v[38:39]
	v_mad_u64_u32 v[22:23], s[4:5], s2, v32, 0
	v_mul_hi_u32 v39, v37, s1
	v_add_co_u32_e32 v16, vcc, v0, v16
	v_mad_u64_u32 v[37:38], s[4:5], s3, v32, v[23:24]
	v_mul_u32_u24_e32 v23, 0x5a0, v39
	v_sub_u32_e32 v23, v35, v23
	v_mad_u32_u24 v32, v39, s0, v23
	v_mad_u64_u32 v[38:39], s[4:5], s2, v32, 0
	v_fma_f32 v57, v88, 2.0, -v25
	v_addc_co_u32_e32 v17, vcc, v3, v17, vcc
	v_mov_b32_e32 v23, v37
	global_store_dwordx2 v[16:17], v[56:57], off
	v_lshlrev_b64 v[16:17], 3, v[22:23]
	v_mov_b32_e32 v22, v39
	v_mad_u64_u32 v[22:23], s[4:5], s3, v32, v[22:23]
	v_add_co_u32_e32 v16, vcc, v0, v16
	v_addc_co_u32_e32 v17, vcc, v3, v17, vcc
	global_store_dwordx2 v[16:17], v[24:25], off
	v_add_u32_e32 v24, 0x5a0, v32
	v_add_u32_e32 v25, 0x240, v36
	v_mov_b32_e32 v39, v22
	v_mad_u64_u32 v[22:23], s[4:5], s2, v24, 0
	v_lshrrev_b32_e32 v32, 5, v25
	v_mul_hi_u32 v32, v32, s1
	v_mad_u64_u32 v[23:24], s[4:5], s3, v24, v[23:24]
	v_lshlrev_b64 v[16:17], 3, v[38:39]
	v_mul_u32_u24_e32 v24, 0x5a0, v32
	v_sub_u32_e32 v24, v25, v24
	v_mad_u32_u24 v32, v32, s0, v24
	v_mad_u64_u32 v[24:25], s[4:5], s2, v32, 0
	v_add_co_u32_e32 v16, vcc, v0, v16
	v_fma_f32 v70, v91, 2.0, -v50
	v_fma_f32 v69, v64, 2.0, -v49
	v_addc_co_u32_e32 v17, vcc, v3, v17, vcc
	global_store_dwordx2 v[16:17], v[69:70], off
	v_lshlrev_b64 v[16:17], 3, v[22:23]
	v_mov_b32_e32 v22, v25
	v_mad_u64_u32 v[22:23], s[4:5], s3, v32, v[22:23]
	v_add_co_u32_e32 v16, vcc, v0, v16
	v_addc_co_u32_e32 v17, vcc, v3, v17, vcc
	v_mov_b32_e32 v25, v22
	global_store_dwordx2 v[16:17], v[49:50], off
	v_lshlrev_b64 v[16:17], 3, v[24:25]
	v_add_u32_e32 v24, 0x5a0, v32
	v_add_u32_e32 v25, 0x2a0, v36
	v_mad_u64_u32 v[22:23], s[4:5], s2, v24, 0
	v_lshrrev_b32_e32 v32, 5, v25
	v_mul_hi_u32 v32, v32, s1
	v_mad_u64_u32 v[23:24], s[4:5], s3, v24, v[23:24]
	v_add_co_u32_e32 v16, vcc, v0, v16
	v_mul_u32_u24_e32 v24, 0x5a0, v32
	v_sub_u32_e32 v24, v25, v24
	v_mad_u32_u24 v32, v32, s0, v24
	v_mad_u64_u32 v[24:25], s[4:5], s2, v32, 0
	v_fma_f32 v47, v63, 2.0, -v45
	v_fma_f32 v63, v87, 2.0, -v27
	;; [unrolled: 1-line block ×3, first 2 shown]
	v_addc_co_u32_e32 v17, vcc, v3, v17, vcc
	global_store_dwordx2 v[16:17], v[62:63], off
	v_lshlrev_b64 v[16:17], 3, v[22:23]
	v_mov_b32_e32 v22, v25
	v_mad_u64_u32 v[22:23], s[4:5], s3, v32, v[22:23]
	v_add_co_u32_e32 v16, vcc, v0, v16
	v_addc_co_u32_e32 v17, vcc, v3, v17, vcc
	v_mov_b32_e32 v25, v22
	global_store_dwordx2 v[16:17], v[26:27], off
	v_lshlrev_b64 v[16:17], 3, v[24:25]
	v_add_u32_e32 v24, 0x5a0, v32
	v_add_u32_e32 v25, 0x300, v36
	v_mad_u64_u32 v[22:23], s[4:5], s2, v24, 0
	v_lshrrev_b32_e32 v26, 5, v25
	v_mul_hi_u32 v26, v26, s1
	v_mad_u64_u32 v[23:24], s[4:5], s3, v24, v[23:24]
	v_add_co_u32_e32 v16, vcc, v0, v16
	v_mul_u32_u24_e32 v24, 0x5a0, v26
	v_sub_u32_e32 v24, v25, v24
	v_mad_u32_u24 v26, v26, s0, v24
	v_mad_u64_u32 v[24:25], s[4:5], s2, v26, 0
	v_fma_f32 v48, v86, 2.0, -v46
	v_addc_co_u32_e32 v17, vcc, v3, v17, vcc
	global_store_dwordx2 v[16:17], v[47:48], off
	v_lshlrev_b64 v[16:17], 3, v[22:23]
	v_mov_b32_e32 v22, v25
	v_mad_u64_u32 v[22:23], s[4:5], s3, v26, v[22:23]
	v_add_co_u32_e32 v16, vcc, v0, v16
	v_addc_co_u32_e32 v17, vcc, v3, v17, vcc
	v_mov_b32_e32 v25, v22
	global_store_dwordx2 v[16:17], v[45:46], off
	v_lshlrev_b64 v[16:17], 3, v[24:25]
	v_add_u32_e32 v24, 0x5a0, v26
	v_add_u32_e32 v25, 0x360, v36
	v_mad_u64_u32 v[22:23], s[4:5], s2, v24, 0
	v_lshrrev_b32_e32 v26, 5, v25
	v_mul_hi_u32 v26, v26, s1
	v_mad_u64_u32 v[23:24], s[4:5], s3, v24, v[23:24]
	v_add_co_u32_e32 v16, vcc, v0, v16
	v_mul_u32_u24_e32 v24, 0x5a0, v26
	v_sub_u32_e32 v24, v25, v24
	v_mad_u32_u24 v26, v26, s0, v24
	v_mad_u64_u32 v[24:25], s[4:5], s2, v26, 0
	v_fma_f32 v65, v65, 2.0, -v40
	;; [unrolled: 22-line block ×3, first 2 shown]
	v_addc_co_u32_e32 v17, vcc, v3, v17, vcc
	global_store_dwordx2 v[16:17], v[33:34], off
	v_lshlrev_b64 v[16:17], 3, v[22:23]
	v_mov_b32_e32 v22, v25
	v_mad_u64_u32 v[22:23], s[4:5], s3, v26, v[22:23]
	v_add_co_u32_e32 v16, vcc, v0, v16
	v_addc_co_u32_e32 v17, vcc, v3, v17, vcc
	v_mov_b32_e32 v25, v22
	global_store_dwordx2 v[16:17], v[30:31], off
	v_lshlrev_b64 v[16:17], 3, v[24:25]
	v_add_u32_e32 v24, 0x5a0, v26
	v_add_u32_e32 v25, 0x420, v36
	v_mad_u64_u32 v[22:23], s[4:5], s2, v24, 0
	v_lshrrev_b32_e32 v26, 5, v25
	v_mul_hi_u32 v26, v26, s1
	v_mad_u64_u32 v[23:24], s[4:5], s3, v24, v[23:24]
	v_sub_f32_e32 v2, v90, v2
	v_mul_u32_u24_e32 v24, 0x5a0, v26
	v_sub_u32_e32 v24, v25, v24
	v_mad_u32_u24 v26, v26, s0, v24
	v_mad_u64_u32 v[24:25], s[4:5], s2, v26, 0
	v_add_co_u32_e32 v16, vcc, v0, v16
	v_fma_f32 v29, v90, 2.0, -v2
	v_addc_co_u32_e32 v17, vcc, v3, v17, vcc
	global_store_dwordx2 v[16:17], v[28:29], off
	v_lshlrev_b64 v[16:17], 3, v[22:23]
	v_mov_b32_e32 v22, v25
	v_mad_u64_u32 v[22:23], s[4:5], s3, v26, v[22:23]
	v_add_co_u32_e32 v16, vcc, v0, v16
	v_addc_co_u32_e32 v17, vcc, v3, v17, vcc
	v_mov_b32_e32 v25, v22
	global_store_dwordx2 v[16:17], v[1:2], off
	v_lshlrev_b64 v[1:2], 3, v[24:25]
	v_add_u32_e32 v24, 0x480, v36
	v_add_u32_e32 v22, 0x5a0, v26
	v_lshrrev_b32_e32 v23, 5, v24
	v_mad_u64_u32 v[16:17], s[4:5], s2, v22, 0
	v_mul_hi_u32 v25, v23, s1
	v_add_co_u32_e32 v1, vcc, v0, v1
	v_mad_u64_u32 v[22:23], s[4:5], s3, v22, v[17:18]
	v_mul_u32_u24_e32 v17, 0x5a0, v25
	v_sub_u32_e32 v17, v24, v17
	v_mad_u32_u24 v25, v25, s0, v17
	v_mad_u64_u32 v[23:24], s[4:5], s2, v25, 0
	v_addc_co_u32_e32 v2, vcc, v3, v2, vcc
	v_mov_b32_e32 v17, v22
	global_store_dwordx2 v[1:2], v[20:21], off
	v_lshlrev_b64 v[1:2], 3, v[16:17]
	v_mov_b32_e32 v16, v24
	v_mad_u64_u32 v[16:17], s[4:5], s3, v25, v[16:17]
	v_add_co_u32_e32 v1, vcc, v0, v1
	v_addc_co_u32_e32 v2, vcc, v3, v2, vcc
	global_store_dwordx2 v[1:2], v[18:19], off
	v_add_u32_e32 v18, 0x5a0, v25
	v_add_u32_e32 v19, 0x4e0, v36
	v_mov_b32_e32 v24, v16
	v_mad_u64_u32 v[16:17], s[4:5], s2, v18, 0
	v_lshrrev_b32_e32 v20, 5, v19
	v_mul_hi_u32 v20, v20, s1
	v_mad_u64_u32 v[17:18], s[4:5], s3, v18, v[17:18]
	v_lshlrev_b64 v[1:2], 3, v[23:24]
	v_mul_u32_u24_e32 v18, 0x5a0, v20
	v_sub_u32_e32 v18, v19, v18
	v_mad_u32_u24 v20, v20, s0, v18
	v_mad_u64_u32 v[18:19], s[4:5], s2, v20, 0
	v_add_co_u32_e32 v1, vcc, v0, v1
	v_addc_co_u32_e32 v2, vcc, v3, v2, vcc
	global_store_dwordx2 v[1:2], v[14:15], off
	v_mov_b32_e32 v14, v19
	v_mad_u64_u32 v[14:15], s[4:5], s3, v20, v[14:15]
	v_lshlrev_b64 v[1:2], 3, v[16:17]
	v_sub_f32_e32 v8, v10, v8
	v_add_co_u32_e32 v1, vcc, v0, v1
	v_addc_co_u32_e32 v2, vcc, v3, v2, vcc
	v_mov_b32_e32 v19, v14
	v_add_u32_e32 v14, 0x5a0, v20
	global_store_dwordx2 v[1:2], v[12:13], off
	v_mad_u64_u32 v[12:13], s[4:5], s2, v14, 0
	v_lshlrev_b64 v[1:2], 3, v[18:19]
	v_fma_f32 v10, v10, 2.0, -v8
	v_mad_u64_u32 v[13:14], s[4:5], s3, v14, v[13:14]
	v_add_u32_e32 v14, 0x540, v36
	v_lshrrev_b32_e32 v15, 5, v14
	v_mul_hi_u32 v15, v15, s1
	v_add_co_u32_e32 v1, vcc, v0, v1
	v_addc_co_u32_e32 v2, vcc, v3, v2, vcc
	global_store_dwordx2 v[1:2], v[10:11], off
	v_mul_u32_u24_e32 v10, 0x5a0, v15
	v_sub_u32_e32 v10, v14, v10
	v_lshlrev_b64 v[1:2], 3, v[12:13]
	v_mad_u32_u24 v13, v15, s0, v10
	v_mad_u64_u32 v[10:11], s[0:1], s2, v13, 0
	v_add_u32_e32 v14, 0x5a0, v13
	v_add_co_u32_e32 v1, vcc, v0, v1
	v_mad_u64_u32 v[11:12], s[0:1], s3, v13, v[11:12]
	v_mad_u64_u32 v[12:13], s[0:1], s2, v14, 0
	v_addc_co_u32_e32 v2, vcc, v3, v2, vcc
	global_store_dwordx2 v[1:2], v[8:9], off
	v_mov_b32_e32 v8, v13
	v_mad_u64_u32 v[8:9], s[0:1], s3, v14, v[8:9]
	v_lshlrev_b64 v[1:2], 3, v[10:11]
	v_fma_f32 v6, v6, 2.0, -v4
	v_add_co_u32_e32 v1, vcc, v0, v1
	v_addc_co_u32_e32 v2, vcc, v3, v2, vcc
	v_mov_b32_e32 v13, v8
	global_store_dwordx2 v[1:2], v[6:7], off
	v_lshlrev_b64 v[1:2], 3, v[12:13]
	v_add_co_u32_e32 v0, vcc, v0, v1
	v_addc_co_u32_e32 v1, vcc, v3, v2, vcc
	global_store_dwordx2 v[0:1], v[4:5], off
.LBB0_15:
	s_endpgm
	.section	.rodata,"a",@progbits
	.p2align	6, 0x0
	.amdhsa_kernel fft_rtc_fwd_len2880_factors_10_6_6_2_2_2_wgs_96_tpt_96_halfLds_sp_op_CI_CI_sbrr_dirReg
		.amdhsa_group_segment_fixed_size 0
		.amdhsa_private_segment_fixed_size 0
		.amdhsa_kernarg_size 104
		.amdhsa_user_sgpr_count 6
		.amdhsa_user_sgpr_private_segment_buffer 1
		.amdhsa_user_sgpr_dispatch_ptr 0
		.amdhsa_user_sgpr_queue_ptr 0
		.amdhsa_user_sgpr_kernarg_segment_ptr 1
		.amdhsa_user_sgpr_dispatch_id 0
		.amdhsa_user_sgpr_flat_scratch_init 0
		.amdhsa_user_sgpr_private_segment_size 0
		.amdhsa_uses_dynamic_stack 0
		.amdhsa_system_sgpr_private_segment_wavefront_offset 0
		.amdhsa_system_sgpr_workgroup_id_x 1
		.amdhsa_system_sgpr_workgroup_id_y 0
		.amdhsa_system_sgpr_workgroup_id_z 0
		.amdhsa_system_sgpr_workgroup_info 0
		.amdhsa_system_vgpr_workitem_id 0
		.amdhsa_next_free_vgpr 153
		.amdhsa_next_free_sgpr 32
		.amdhsa_reserve_vcc 1
		.amdhsa_reserve_flat_scratch 0
		.amdhsa_float_round_mode_32 0
		.amdhsa_float_round_mode_16_64 0
		.amdhsa_float_denorm_mode_32 3
		.amdhsa_float_denorm_mode_16_64 3
		.amdhsa_dx10_clamp 1
		.amdhsa_ieee_mode 1
		.amdhsa_fp16_overflow 0
		.amdhsa_exception_fp_ieee_invalid_op 0
		.amdhsa_exception_fp_denorm_src 0
		.amdhsa_exception_fp_ieee_div_zero 0
		.amdhsa_exception_fp_ieee_overflow 0
		.amdhsa_exception_fp_ieee_underflow 0
		.amdhsa_exception_fp_ieee_inexact 0
		.amdhsa_exception_int_div_zero 0
	.end_amdhsa_kernel
	.text
.Lfunc_end0:
	.size	fft_rtc_fwd_len2880_factors_10_6_6_2_2_2_wgs_96_tpt_96_halfLds_sp_op_CI_CI_sbrr_dirReg, .Lfunc_end0-fft_rtc_fwd_len2880_factors_10_6_6_2_2_2_wgs_96_tpt_96_halfLds_sp_op_CI_CI_sbrr_dirReg
                                        ; -- End function
	.section	.AMDGPU.csdata,"",@progbits
; Kernel info:
; codeLenInByte = 20220
; NumSgprs: 36
; NumVgprs: 153
; ScratchSize: 0
; MemoryBound: 0
; FloatMode: 240
; IeeeMode: 1
; LDSByteSize: 0 bytes/workgroup (compile time only)
; SGPRBlocks: 4
; VGPRBlocks: 38
; NumSGPRsForWavesPerEU: 36
; NumVGPRsForWavesPerEU: 153
; Occupancy: 1
; WaveLimiterHint : 1
; COMPUTE_PGM_RSRC2:SCRATCH_EN: 0
; COMPUTE_PGM_RSRC2:USER_SGPR: 6
; COMPUTE_PGM_RSRC2:TRAP_HANDLER: 0
; COMPUTE_PGM_RSRC2:TGID_X_EN: 1
; COMPUTE_PGM_RSRC2:TGID_Y_EN: 0
; COMPUTE_PGM_RSRC2:TGID_Z_EN: 0
; COMPUTE_PGM_RSRC2:TIDIG_COMP_CNT: 0
	.type	__hip_cuid_2bd977c4ad60259a,@object ; @__hip_cuid_2bd977c4ad60259a
	.section	.bss,"aw",@nobits
	.globl	__hip_cuid_2bd977c4ad60259a
__hip_cuid_2bd977c4ad60259a:
	.byte	0                               ; 0x0
	.size	__hip_cuid_2bd977c4ad60259a, 1

	.ident	"AMD clang version 19.0.0git (https://github.com/RadeonOpenCompute/llvm-project roc-6.4.0 25133 c7fe45cf4b819c5991fe208aaa96edf142730f1d)"
	.section	".note.GNU-stack","",@progbits
	.addrsig
	.addrsig_sym __hip_cuid_2bd977c4ad60259a
	.amdgpu_metadata
---
amdhsa.kernels:
  - .args:
      - .actual_access:  read_only
        .address_space:  global
        .offset:         0
        .size:           8
        .value_kind:     global_buffer
      - .offset:         8
        .size:           8
        .value_kind:     by_value
      - .actual_access:  read_only
        .address_space:  global
        .offset:         16
        .size:           8
        .value_kind:     global_buffer
      - .actual_access:  read_only
        .address_space:  global
        .offset:         24
        .size:           8
        .value_kind:     global_buffer
      - .actual_access:  read_only
        .address_space:  global
        .offset:         32
        .size:           8
        .value_kind:     global_buffer
      - .offset:         40
        .size:           8
        .value_kind:     by_value
      - .actual_access:  read_only
        .address_space:  global
        .offset:         48
        .size:           8
        .value_kind:     global_buffer
      - .actual_access:  read_only
        .address_space:  global
        .offset:         56
        .size:           8
        .value_kind:     global_buffer
      - .offset:         64
        .size:           4
        .value_kind:     by_value
      - .actual_access:  read_only
        .address_space:  global
        .offset:         72
        .size:           8
        .value_kind:     global_buffer
      - .actual_access:  read_only
        .address_space:  global
        .offset:         80
        .size:           8
        .value_kind:     global_buffer
      - .actual_access:  read_only
        .address_space:  global
        .offset:         88
        .size:           8
        .value_kind:     global_buffer
      - .actual_access:  write_only
        .address_space:  global
        .offset:         96
        .size:           8
        .value_kind:     global_buffer
    .group_segment_fixed_size: 0
    .kernarg_segment_align: 8
    .kernarg_segment_size: 104
    .language:       OpenCL C
    .language_version:
      - 2
      - 0
    .max_flat_workgroup_size: 96
    .name:           fft_rtc_fwd_len2880_factors_10_6_6_2_2_2_wgs_96_tpt_96_halfLds_sp_op_CI_CI_sbrr_dirReg
    .private_segment_fixed_size: 0
    .sgpr_count:     36
    .sgpr_spill_count: 0
    .symbol:         fft_rtc_fwd_len2880_factors_10_6_6_2_2_2_wgs_96_tpt_96_halfLds_sp_op_CI_CI_sbrr_dirReg.kd
    .uniform_work_group_size: 1
    .uses_dynamic_stack: false
    .vgpr_count:     153
    .vgpr_spill_count: 0
    .wavefront_size: 64
amdhsa.target:   amdgcn-amd-amdhsa--gfx906
amdhsa.version:
  - 1
  - 2
...

	.end_amdgpu_metadata
